;; amdgpu-corpus repo=ggml-org/llama.cpp kind=compiled arch=gfx906 opt=O3
	.amdgcn_target "amdgcn-amd-amdhsa--gfx906"
	.amdhsa_code_object_version 6
	.section	.text._ZL18get_batch_pointersPKfPfPS0_PS1_llmmmm,"axG",@progbits,_ZL18get_batch_pointersPKfPfPS0_PS1_llmmmm,comdat
	.globl	_ZL18get_batch_pointersPKfPfPS0_PS1_llmmmm ; -- Begin function _ZL18get_batch_pointersPKfPfPS0_PS1_llmmmm
	.p2align	8
	.type	_ZL18get_batch_pointersPKfPfPS0_PS1_llmmmm,@function
_ZL18get_batch_pointersPKfPfPS0_PS1_llmmmm: ; @_ZL18get_batch_pointersPKfPfPS0_PS1_llmmmm
; %bb.0:
	s_load_dword s0, s[4:5], 0x5c
	s_load_dwordx16 s[8:23], s[4:5], 0x0
	s_waitcnt lgkmcnt(0)
	s_and_b32 s0, s0, 0xffff
	s_mul_i32 s6, s6, s0
	v_add_u32_e32 v0, s6, v0
	v_ashrrev_i32_e32 v1, 31, v0
	v_cmp_gt_i64_e32 vcc, s[18:19], v[0:1]
	s_and_saveexec_b64 s[0:1], vcc
	s_cbranch_execz .LBB0_6
; %bb.1:
	v_or_b32_e32 v3, s17, v1
	v_mov_b32_e32 v2, 0
	v_cmp_ne_u64_e32 vcc, 0, v[2:3]
                                        ; implicit-def: $vgpr2_vgpr3
	s_and_saveexec_b64 s[0:1], vcc
	s_xor_b64 s[2:3], exec, s[0:1]
	s_cbranch_execz .LBB0_3
; %bb.2:
	s_ashr_i32 s6, s17, 31
	s_add_u32 s0, s16, s6
	s_mov_b32 s7, s6
	s_addc_u32 s1, s17, s6
	s_xor_b64 s[18:19], s[0:1], s[6:7]
	v_cvt_f32_u32_e32 v2, s18
	v_cvt_f32_u32_e32 v3, s19
	s_sub_u32 s7, 0, s18
	s_subb_u32 s24, 0, s19
	v_ashrrev_i32_e32 v6, 31, v1
	v_madmk_f32 v2, v3, 0x4f800000, v2
	v_rcp_f32_e32 v2, v2
	v_mul_f32_e32 v2, 0x5f7ffffc, v2
	v_mul_f32_e32 v3, 0x2f800000, v2
	v_trunc_f32_e32 v3, v3
	v_madmk_f32 v2, v3, 0xcf800000, v2
	v_cvt_u32_f32_e32 v3, v3
	v_cvt_u32_f32_e32 v2, v2
	v_readfirstlane_b32 s25, v3
	v_readfirstlane_b32 s0, v2
	s_mul_i32 s1, s7, s25
	s_mul_hi_u32 s27, s7, s0
	s_mul_i32 s26, s24, s0
	s_add_i32 s1, s27, s1
	s_add_i32 s1, s1, s26
	s_mul_i32 s28, s7, s0
	s_mul_i32 s27, s0, s1
	s_mul_hi_u32 s29, s0, s28
	s_mul_hi_u32 s26, s0, s1
	s_add_u32 s27, s29, s27
	s_addc_u32 s26, 0, s26
	s_mul_hi_u32 s30, s25, s28
	s_mul_i32 s28, s25, s28
	s_add_u32 s27, s27, s28
	s_mul_hi_u32 s29, s25, s1
	s_addc_u32 s26, s26, s30
	s_addc_u32 s27, s29, 0
	s_mul_i32 s1, s25, s1
	s_add_u32 s1, s26, s1
	s_addc_u32 s26, 0, s27
	s_add_u32 s27, s0, s1
	s_cselect_b64 s[0:1], -1, 0
	s_cmp_lg_u64 s[0:1], 0
	s_addc_u32 s25, s25, s26
	s_mul_i32 s0, s7, s25
	s_mul_hi_u32 s1, s7, s27
	s_add_i32 s0, s1, s0
	s_mul_i32 s24, s24, s27
	s_add_i32 s0, s0, s24
	s_mul_i32 s7, s7, s27
	s_mul_hi_u32 s24, s25, s7
	s_mul_i32 s26, s25, s7
	s_mul_i32 s29, s27, s0
	s_mul_hi_u32 s7, s27, s7
	s_mul_hi_u32 s28, s27, s0
	s_add_u32 s7, s7, s29
	s_addc_u32 s28, 0, s28
	s_add_u32 s7, s7, s26
	s_mul_hi_u32 s1, s25, s0
	s_addc_u32 s7, s28, s24
	s_addc_u32 s1, s1, 0
	s_mul_i32 s0, s25, s0
	s_add_u32 s0, s7, s0
	s_addc_u32 s7, 0, s1
	s_add_u32 s24, s27, s0
	s_cselect_b64 s[0:1], -1, 0
	s_cmp_lg_u64 s[0:1], 0
	v_add_co_u32_e32 v2, vcc, v0, v6
	s_addc_u32 s7, s25, s7
	v_xor_b32_e32 v7, v2, v6
	v_mad_u64_u32 v[2:3], s[0:1], v7, s7, 0
	v_mul_hi_u32 v5, v7, s24
	v_addc_co_u32_e32 v4, vcc, v1, v6, vcc
	v_xor_b32_e32 v8, v4, v6
	v_add_co_u32_e32 v9, vcc, v5, v2
	v_addc_co_u32_e32 v10, vcc, 0, v3, vcc
	v_mad_u64_u32 v[2:3], s[0:1], v8, s24, 0
	v_mad_u64_u32 v[4:5], s[0:1], v8, s7, 0
	v_add_co_u32_e32 v2, vcc, v9, v2
	v_addc_co_u32_e32 v2, vcc, v10, v3, vcc
	v_addc_co_u32_e32 v3, vcc, 0, v5, vcc
	v_add_co_u32_e32 v4, vcc, v2, v4
	v_addc_co_u32_e32 v5, vcc, 0, v3, vcc
	v_mul_lo_u32 v9, s19, v4
	v_mul_lo_u32 v10, s18, v5
	v_mad_u64_u32 v[2:3], s[0:1], s18, v4, 0
	v_add3_u32 v3, v3, v10, v9
	v_sub_u32_e32 v9, v8, v3
	v_mov_b32_e32 v10, s19
	v_sub_co_u32_e32 v2, vcc, v7, v2
	v_subb_co_u32_e64 v7, s[0:1], v9, v10, vcc
	v_subrev_co_u32_e64 v9, s[0:1], s18, v2
	v_subbrev_co_u32_e64 v7, s[0:1], 0, v7, s[0:1]
	v_cmp_le_u32_e64 s[0:1], s19, v7
	v_cndmask_b32_e64 v10, 0, -1, s[0:1]
	v_cmp_le_u32_e64 s[0:1], s18, v9
	v_cndmask_b32_e64 v9, 0, -1, s[0:1]
	v_cmp_eq_u32_e64 s[0:1], s19, v7
	v_cndmask_b32_e64 v7, v10, v9, s[0:1]
	v_add_co_u32_e64 v9, s[0:1], 2, v4
	v_subb_co_u32_e32 v3, vcc, v8, v3, vcc
	v_addc_co_u32_e64 v10, s[0:1], 0, v5, s[0:1]
	v_cmp_le_u32_e32 vcc, s19, v3
	v_add_co_u32_e64 v11, s[0:1], 1, v4
	v_cndmask_b32_e64 v8, 0, -1, vcc
	v_cmp_le_u32_e32 vcc, s18, v2
	v_addc_co_u32_e64 v12, s[0:1], 0, v5, s[0:1]
	v_cndmask_b32_e64 v2, 0, -1, vcc
	v_cmp_eq_u32_e32 vcc, s19, v3
	v_cmp_ne_u32_e64 s[0:1], 0, v7
	v_cndmask_b32_e32 v2, v8, v2, vcc
	v_cndmask_b32_e64 v7, v12, v10, s[0:1]
	v_cmp_ne_u32_e32 vcc, 0, v2
	v_cndmask_b32_e64 v3, v11, v9, s[0:1]
	v_cndmask_b32_e32 v2, v5, v7, vcc
	v_cndmask_b32_e32 v3, v4, v3, vcc
	v_xor_b32_e32 v4, s6, v6
	v_xor_b32_e32 v5, v2, v4
	;; [unrolled: 1-line block ×3, first 2 shown]
	v_sub_co_u32_e32 v2, vcc, v2, v4
	v_subb_co_u32_e32 v3, vcc, v5, v4, vcc
.LBB0_3:
	s_andn2_saveexec_b64 s[0:1], s[2:3]
	s_cbranch_execz .LBB0_5
; %bb.4:
	v_cvt_f32_u32_e32 v2, s16
	s_sub_i32 s2, 0, s16
	v_rcp_iflag_f32_e32 v2, v2
	v_mul_f32_e32 v2, 0x4f7ffffe, v2
	v_cvt_u32_f32_e32 v2, v2
	v_mul_lo_u32 v3, s2, v2
	v_mul_hi_u32 v3, v2, v3
	v_add_u32_e32 v2, v2, v3
	v_mul_hi_u32 v2, v0, v2
	v_mul_lo_u32 v3, v2, s16
	v_add_u32_e32 v4, 1, v2
	v_sub_u32_e32 v3, v0, v3
	v_subrev_u32_e32 v5, s16, v3
	v_cmp_le_u32_e32 vcc, s16, v3
	v_cndmask_b32_e32 v3, v3, v5, vcc
	v_cndmask_b32_e32 v2, v2, v4, vcc
	v_add_u32_e32 v4, 1, v2
	v_cmp_le_u32_e32 vcc, s16, v3
	v_cndmask_b32_e32 v2, v2, v4, vcc
	v_mov_b32_e32 v3, 0
.LBB0_5:
	s_or_b64 exec, exec, s[0:1]
	v_mul_lo_u32 v6, v3, s16
	v_mul_lo_u32 v7, v2, s17
	v_mad_u64_u32 v[4:5], s[0:1], v2, s16, 0
	s_load_dwordx4 s[0:3], s[4:5], 0x40
	v_mul_lo_u32 v8, v3, s22
	v_add3_u32 v7, v5, v7, v6
	v_mul_lo_u32 v9, v2, s23
	v_mad_u64_u32 v[5:6], s[4:5], v2, s22, 0
	v_sub_co_u32_e32 v10, vcc, v0, v4
	v_subb_co_u32_e32 v11, vcc, v1, v7, vcc
	v_add3_u32 v6, v6, v9, v8
	v_lshlrev_b64 v[4:5], 2, v[5:6]
	v_mul_lo_u32 v9, v11, s20
	v_mul_lo_u32 v12, v10, s21
	v_mad_u64_u32 v[6:7], s[4:5], v10, s20, 0
	v_mov_b32_e32 v8, s9
	v_add_co_u32_e32 v13, vcc, s8, v4
	v_add3_u32 v7, v7, v12, v9
	v_addc_co_u32_e32 v8, vcc, v8, v5, vcc
	v_lshlrev_b64 v[4:5], 2, v[6:7]
	v_lshlrev_b64 v[0:1], 3, v[0:1]
	v_add_co_u32_e32 v4, vcc, v13, v4
	v_addc_co_u32_e32 v5, vcc, v8, v5, vcc
	s_waitcnt lgkmcnt(0)
	v_mul_lo_u32 v8, v3, s2
	v_mul_lo_u32 v9, v2, s3
	v_mad_u64_u32 v[2:3], s[2:3], v2, s2, 0
	v_mov_b32_e32 v7, s13
	v_add_co_u32_e32 v6, vcc, s12, v0
	v_addc_co_u32_e32 v7, vcc, v7, v1, vcc
	global_store_dwordx2 v[6:7], v[4:5], off
	v_add3_u32 v3, v3, v9, v8
	v_mul_lo_u32 v7, v11, s0
	v_mul_lo_u32 v8, v10, s1
	v_mad_u64_u32 v[4:5], s[0:1], v10, s0, 0
	v_lshlrev_b64 v[2:3], 2, v[2:3]
	v_mov_b32_e32 v6, s11
	v_add_co_u32_e32 v9, vcc, s10, v2
	v_add3_u32 v5, v5, v8, v7
	v_addc_co_u32_e32 v6, vcc, v6, v3, vcc
	v_lshlrev_b64 v[2:3], 2, v[4:5]
	v_mov_b32_e32 v4, s15
	v_add_co_u32_e32 v2, vcc, v9, v2
	v_addc_co_u32_e32 v3, vcc, v6, v3, vcc
	v_add_co_u32_e32 v0, vcc, s14, v0
	v_addc_co_u32_e32 v1, vcc, v4, v1, vcc
	global_store_dwordx2 v[0:1], v[2:3], off
.LBB0_6:
	s_endpgm
	.section	.rodata,"a",@progbits
	.p2align	6, 0x0
	.amdhsa_kernel _ZL18get_batch_pointersPKfPfPS0_PS1_llmmmm
		.amdhsa_group_segment_fixed_size 0
		.amdhsa_private_segment_fixed_size 0
		.amdhsa_kernarg_size 336
		.amdhsa_user_sgpr_count 6
		.amdhsa_user_sgpr_private_segment_buffer 1
		.amdhsa_user_sgpr_dispatch_ptr 0
		.amdhsa_user_sgpr_queue_ptr 0
		.amdhsa_user_sgpr_kernarg_segment_ptr 1
		.amdhsa_user_sgpr_dispatch_id 0
		.amdhsa_user_sgpr_flat_scratch_init 0
		.amdhsa_user_sgpr_private_segment_size 0
		.amdhsa_uses_dynamic_stack 0
		.amdhsa_system_sgpr_private_segment_wavefront_offset 0
		.amdhsa_system_sgpr_workgroup_id_x 1
		.amdhsa_system_sgpr_workgroup_id_y 0
		.amdhsa_system_sgpr_workgroup_id_z 0
		.amdhsa_system_sgpr_workgroup_info 0
		.amdhsa_system_vgpr_workitem_id 0
		.amdhsa_next_free_vgpr 14
		.amdhsa_next_free_sgpr 31
		.amdhsa_reserve_vcc 1
		.amdhsa_reserve_flat_scratch 0
		.amdhsa_float_round_mode_32 0
		.amdhsa_float_round_mode_16_64 0
		.amdhsa_float_denorm_mode_32 3
		.amdhsa_float_denorm_mode_16_64 3
		.amdhsa_dx10_clamp 1
		.amdhsa_ieee_mode 1
		.amdhsa_fp16_overflow 0
		.amdhsa_exception_fp_ieee_invalid_op 0
		.amdhsa_exception_fp_denorm_src 0
		.amdhsa_exception_fp_ieee_div_zero 0
		.amdhsa_exception_fp_ieee_overflow 0
		.amdhsa_exception_fp_ieee_underflow 0
		.amdhsa_exception_fp_ieee_inexact 0
		.amdhsa_exception_int_div_zero 0
	.end_amdhsa_kernel
	.section	.text._ZL18get_batch_pointersPKfPfPS0_PS1_llmmmm,"axG",@progbits,_ZL18get_batch_pointersPKfPfPS0_PS1_llmmmm,comdat
.Lfunc_end0:
	.size	_ZL18get_batch_pointersPKfPfPS0_PS1_llmmmm, .Lfunc_end0-_ZL18get_batch_pointersPKfPfPS0_PS1_llmmmm
                                        ; -- End function
	.set _ZL18get_batch_pointersPKfPfPS0_PS1_llmmmm.num_vgpr, 14
	.set _ZL18get_batch_pointersPKfPfPS0_PS1_llmmmm.num_agpr, 0
	.set _ZL18get_batch_pointersPKfPfPS0_PS1_llmmmm.numbered_sgpr, 31
	.set _ZL18get_batch_pointersPKfPfPS0_PS1_llmmmm.num_named_barrier, 0
	.set _ZL18get_batch_pointersPKfPfPS0_PS1_llmmmm.private_seg_size, 0
	.set _ZL18get_batch_pointersPKfPfPS0_PS1_llmmmm.uses_vcc, 1
	.set _ZL18get_batch_pointersPKfPfPS0_PS1_llmmmm.uses_flat_scratch, 0
	.set _ZL18get_batch_pointersPKfPfPS0_PS1_llmmmm.has_dyn_sized_stack, 0
	.set _ZL18get_batch_pointersPKfPfPS0_PS1_llmmmm.has_recursion, 0
	.set _ZL18get_batch_pointersPKfPfPS0_PS1_llmmmm.has_indirect_call, 0
	.section	.AMDGPU.csdata,"",@progbits
; Kernel info:
; codeLenInByte = 1104
; TotalNumSgprs: 35
; NumVgprs: 14
; ScratchSize: 0
; MemoryBound: 0
; FloatMode: 240
; IeeeMode: 1
; LDSByteSize: 0 bytes/workgroup (compile time only)
; SGPRBlocks: 4
; VGPRBlocks: 3
; NumSGPRsForWavesPerEU: 35
; NumVGPRsForWavesPerEU: 14
; Occupancy: 10
; WaveLimiterHint : 0
; COMPUTE_PGM_RSRC2:SCRATCH_EN: 0
; COMPUTE_PGM_RSRC2:USER_SGPR: 6
; COMPUTE_PGM_RSRC2:TRAP_HANDLER: 0
; COMPUTE_PGM_RSRC2:TGID_X_EN: 1
; COMPUTE_PGM_RSRC2:TGID_Y_EN: 0
; COMPUTE_PGM_RSRC2:TGID_Z_EN: 0
; COMPUTE_PGM_RSRC2:TIDIG_COMP_CNT: 0
	.section	.text._ZL18solve_tri_f32_fastILi64ELi32EEvPKfS1_Pf15HIP_vector_typeIjLj3EEmmmmmmii,"axG",@progbits,_ZL18solve_tri_f32_fastILi64ELi32EEvPKfS1_Pf15HIP_vector_typeIjLj3EEmmmmmmii,comdat
	.globl	_ZL18solve_tri_f32_fastILi64ELi32EEvPKfS1_Pf15HIP_vector_typeIjLj3EEmmmmmmii ; -- Begin function _ZL18solve_tri_f32_fastILi64ELi32EEvPKfS1_Pf15HIP_vector_typeIjLj3EEmmmmmmii
	.p2align	8
	.type	_ZL18solve_tri_f32_fastILi64ELi32EEvPKfS1_Pf15HIP_vector_typeIjLj3EEmmmmmmii,@function
_ZL18solve_tri_f32_fastILi64ELi32EEvPKfS1_Pf15HIP_vector_typeIjLj3EEmmmmmmii: ; @_ZL18solve_tri_f32_fastILi64ELi32EEvPKfS1_Pf15HIP_vector_typeIjLj3EEmmmmmmii
; %bb.0:
	v_cmp_gt_u32_e32 vcc, 32, v1
	s_and_saveexec_b64 s[0:1], vcc
	s_cbranch_execz .LBB1_269
; %bb.1:
	s_load_dwordx4 s[0:3], s[4:5], 0x18
	s_load_dwordx2 s[16:17], s[4:5], 0x0
	s_load_dwordx8 s[8:15], s[4:5], 0x28
	s_waitcnt lgkmcnt(0)
	s_mul_hi_u32 s0, s0, s6
	s_add_i32 s0, s6, s0
	s_lshr_b32 s33, s0, s1
	s_mul_i32 s0, s33, s2
	s_sub_i32 s48, s6, s0
	s_mul_i32 s1, s9, s48
	s_mul_hi_u32 s2, s8, s48
	s_mul_i32 s0, s8, s48
	s_add_i32 s1, s2, s1
	s_lshl_b64 s[0:1], s[0:1], 2
	s_add_u32 s2, s16, s0
	s_load_dword s6, s[4:5], 0x6c
	s_addc_u32 s3, s17, s1
	s_mul_i32 s0, s11, s33
	s_mul_hi_u32 s1, s10, s33
	s_add_i32 s1, s1, s0
	s_mul_i32 s0, s10, s33
	s_lshl_b64 s[0:1], s[0:1], 2
	s_add_u32 s0, s2, s0
	s_addc_u32 s1, s3, s1
	s_waitcnt lgkmcnt(0)
	s_and_b32 s2, s6, 0xffff
	v_mad_u32_u24 v3, v1, s2, v0
	s_movk_i32 s2, 0x1000
	v_cmp_gt_u32_e32 vcc, s2, v3
	v_lshlrev_b32_e32 v2, 2, v3
	s_and_saveexec_b64 s[2:3], vcc
	s_cbranch_execz .LBB1_3
; %bb.2:
	global_load_dword v4, v2, s[0:1]
	s_waitcnt vmcnt(0)
	ds_write_b32 v2, v4
.LBB1_3:
	s_or_b64 exec, exec, s[2:3]
	s_load_dwordx4 s[44:47], s[4:5], 0x48
	s_movk_i32 s2, 0xc00
	v_cmp_gt_u32_e32 vcc, s2, v3
	s_and_saveexec_b64 s[2:3], vcc
	s_cbranch_execz .LBB1_5
; %bb.4:
	v_add_u32_e32 v4, 0x1000, v2
	global_load_dword v4, v4, s[0:1]
	s_waitcnt vmcnt(0)
	ds_write_b32 v2, v4 offset:4096
.LBB1_5:
	s_or_b64 exec, exec, s[2:3]
	s_load_dwordx2 s[2:3], s[4:5], 0x8
	s_movk_i32 s6, 0x800
	v_cmp_gt_u32_e32 vcc, s6, v3
	s_and_saveexec_b64 s[6:7], vcc
	s_cbranch_execz .LBB1_7
; %bb.6:
	v_or_b32_e32 v4, 0x2000, v2
	global_load_dword v4, v4, s[0:1]
	s_waitcnt vmcnt(0)
	ds_write_b32 v2, v4 offset:8192
.LBB1_7:
	s_or_b64 exec, exec, s[6:7]
	s_movk_i32 s6, 0x400
	v_cmp_gt_u32_e32 vcc, s6, v3
	s_and_saveexec_b64 s[6:7], vcc
	s_cbranch_execz .LBB1_9
; %bb.8:
	v_or_b32_e32 v3, 0x3000, v2
	global_load_dword v3, v3, s[0:1]
	s_waitcnt vmcnt(0)
	ds_write_b32 v2, v3 offset:12288
.LBB1_9:
	s_or_b64 exec, exec, s[6:7]
	s_mul_i32 s0, s13, s48
	s_mul_hi_u32 s1, s12, s48
	s_add_i32 s1, s1, s0
	s_mul_i32 s0, s12, s48
	s_mul_i32 s6, s15, s33
	s_mul_hi_u32 s7, s14, s33
	s_add_i32 s7, s7, s6
	s_lshl_b64 s[0:1], s[0:1], 2
	s_mul_i32 s6, s14, s33
	s_waitcnt lgkmcnt(0)
	s_add_u32 s2, s2, s0
	s_addc_u32 s3, s3, s1
	s_lshl_b64 s[0:1], s[6:7], 2
	s_add_u32 s0, s2, s0
	s_addc_u32 s1, s3, s1
	v_mov_b32_e32 v10, 0
	v_lshlrev_b32_e32 v1, 2, v1
	v_mov_b32_e32 v9, 0
	s_barrier
	v_cmp_gt_u32_e64 s[6:7], 64, v0
	s_mov_b64 s[2:3], exec
                                        ; implicit-def: $vgpr17 : SGPR spill to VGPR lane
	v_writelane_b32 v17, s6, 0
	v_writelane_b32 v17, s7, 1
	s_and_b64 s[6:7], s[2:3], s[6:7]
	s_mov_b64 exec, s[6:7]
	s_cbranch_execz .LBB1_11
; %bb.10:
	v_lshl_or_b32 v2, v0, 7, v1
	global_load_dword v9, v2, s[0:1]
.LBB1_11:
	s_or_b64 exec, exec, s[2:3]
	v_add_u32_e32 v2, 32, v0
	v_cmp_gt_u32_e64 s[6:7], 32, v0
	s_mov_b64 s[2:3], exec
	v_writelane_b32 v17, s6, 2
	v_writelane_b32 v17, s7, 3
	s_and_b64 s[6:7], s[2:3], s[6:7]
	s_mov_b64 exec, s[6:7]
	s_cbranch_execz .LBB1_13
; %bb.12:
	v_lshl_or_b32 v3, v2, 7, v1
	global_load_dword v10, v3, s[0:1]
.LBB1_13:
	s_or_b64 exec, exec, s[2:3]
	v_cmp_eq_u32_e64 s[6:7], 0, v0
	s_and_saveexec_b64 s[0:1], s[6:7]
	s_cbranch_execz .LBB1_15
; %bb.14:
	v_mov_b32_e32 v3, 0
	ds_read_b32 v3, v3
	s_waitcnt vmcnt(0) lgkmcnt(0)
	v_div_scale_f32 v4, s[2:3], v3, v3, v9
	v_div_scale_f32 v5, vcc, v9, v3, v9
	v_rcp_f32_e32 v6, v4
	v_fma_f32 v7, -v4, v6, 1.0
	v_fmac_f32_e32 v6, v7, v6
	v_mul_f32_e32 v7, v5, v6
	v_fma_f32 v8, -v4, v7, v5
	v_fmac_f32_e32 v7, v8, v6
	v_fma_f32 v4, -v4, v7, v5
	v_div_fmas_f32 v4, v4, v6, v7
	v_div_fixup_f32 v9, v4, v3, v9
.LBB1_15:
	s_or_b64 exec, exec, s[0:1]
	v_lshlrev_b32_e32 v3, 2, v0
	v_mov_b32_e32 v6, 0
	s_and_saveexec_b64 s[0:1], s[6:7]
	s_cbranch_execz .LBB1_17
; %bb.16:
	ds_read_b32 v4, v3 offset:256
	s_waitcnt vmcnt(0) lgkmcnt(0)
	v_fma_f32 v6, v9, v4, 0
.LBB1_17:
	s_or_b64 exec, exec, s[0:1]
	v_mbcnt_lo_u32_b32 v4, -1, 0
	v_mbcnt_hi_u32_b32 v8, -1, v4
	v_and_b32_e32 v4, 0x60, v8
	v_add_u32_e32 v11, 32, v4
	v_xor_b32_e32 v4, 16, v8
	v_cmp_lt_i32_e32 vcc, v4, v11
	v_cndmask_b32_e32 v4, v8, v4, vcc
	v_lshlrev_b32_e32 v4, 2, v4
	ds_bpermute_b32 v7, v4, v6
	v_xor_b32_e32 v5, 8, v8
	v_cmp_lt_i32_e32 vcc, v5, v11
	v_cndmask_b32_e32 v5, v8, v5, vcc
	v_lshlrev_b32_e32 v5, 2, v5
	s_waitcnt lgkmcnt(0)
	v_add_f32_e32 v7, v6, v7
	ds_bpermute_b32 v12, v5, v7
	v_xor_b32_e32 v6, 4, v8
	v_cmp_lt_i32_e32 vcc, v6, v11
	v_cndmask_b32_e32 v6, v8, v6, vcc
	v_lshlrev_b32_e32 v6, 2, v6
	s_waitcnt lgkmcnt(0)
	v_add_f32_e32 v12, v7, v12
	ds_bpermute_b32 v13, v6, v12
	v_xor_b32_e32 v7, 2, v8
	v_cmp_lt_i32_e32 vcc, v7, v11
	v_cndmask_b32_e32 v7, v8, v7, vcc
	v_lshlrev_b32_e32 v7, 2, v7
	s_waitcnt lgkmcnt(0)
	v_add_f32_e32 v12, v12, v13
	ds_bpermute_b32 v13, v7, v12
	v_xor_b32_e32 v14, 1, v8
	v_cmp_lt_i32_e32 vcc, v14, v11
	v_cndmask_b32_e32 v8, v8, v14, vcc
	v_lshlrev_b32_e32 v8, 2, v8
	s_waitcnt lgkmcnt(0)
	v_add_f32_e32 v11, v12, v13
	ds_bpermute_b32 v12, v8, v11
	v_cmp_eq_u32_e64 s[72:73], 1, v0
	s_and_saveexec_b64 s[0:1], s[72:73]
	s_cbranch_execz .LBB1_19
; %bb.18:
	v_mov_b32_e32 v13, 0
	ds_read_b32 v13, v13 offset:260
	s_waitcnt lgkmcnt(1)
	v_add_f32_e32 v11, v11, v12
	s_waitcnt vmcnt(0)
	v_sub_f32_e32 v9, v9, v11
	s_waitcnt lgkmcnt(0)
	v_div_scale_f32 v11, s[2:3], v13, v13, v9
	v_div_scale_f32 v12, vcc, v9, v13, v9
	v_rcp_f32_e32 v14, v11
	v_fma_f32 v15, -v11, v14, 1.0
	v_fmac_f32_e32 v14, v15, v14
	v_mul_f32_e32 v15, v12, v14
	v_fma_f32 v16, -v11, v15, v12
	v_fmac_f32_e32 v15, v16, v14
	v_fma_f32 v11, -v11, v15, v12
	v_div_fmas_f32 v11, v11, v14, v15
	v_div_fixup_f32 v9, v11, v13, v9
.LBB1_19:
	s_or_b64 exec, exec, s[0:1]
	v_mov_b32_e32 v11, 0
	v_cmp_gt_u32_e64 s[2:3], 2, v0
	s_mov_b64 s[0:1], exec
	v_writelane_b32 v17, s2, 4
	v_writelane_b32 v17, s3, 5
	s_and_b64 s[2:3], s[0:1], s[2:3]
	s_mov_b64 exec, s[2:3]
	s_cbranch_execz .LBB1_21
; %bb.20:
	ds_read_b32 v11, v3 offset:512
	s_waitcnt vmcnt(0) lgkmcnt(0)
	v_fma_f32 v11, v9, v11, 0
.LBB1_21:
	s_or_b64 exec, exec, s[0:1]
	s_waitcnt lgkmcnt(0)
	ds_bpermute_b32 v12, v4, v11
	v_cmp_eq_u32_e64 s[74:75], 2, v0
	s_waitcnt lgkmcnt(0)
	v_add_f32_e32 v11, v11, v12
	ds_bpermute_b32 v12, v5, v11
	s_waitcnt lgkmcnt(0)
	v_add_f32_e32 v11, v11, v12
	ds_bpermute_b32 v12, v6, v11
	s_waitcnt lgkmcnt(0)
	v_add_f32_e32 v11, v11, v12
	ds_bpermute_b32 v12, v7, v11
	s_waitcnt lgkmcnt(0)
	v_add_f32_e32 v11, v11, v12
	ds_bpermute_b32 v12, v8, v11
	s_and_saveexec_b64 s[0:1], s[74:75]
	s_cbranch_execz .LBB1_23
; %bb.22:
	v_mov_b32_e32 v13, 0
	ds_read_b32 v13, v13 offset:520
	s_waitcnt lgkmcnt(1)
	v_add_f32_e32 v11, v11, v12
	s_waitcnt vmcnt(0)
	v_sub_f32_e32 v9, v9, v11
	s_waitcnt lgkmcnt(0)
	v_div_scale_f32 v11, s[2:3], v13, v13, v9
	v_div_scale_f32 v12, vcc, v9, v13, v9
	v_rcp_f32_e32 v14, v11
	v_fma_f32 v15, -v11, v14, 1.0
	v_fmac_f32_e32 v14, v15, v14
	v_mul_f32_e32 v15, v12, v14
	v_fma_f32 v16, -v11, v15, v12
	v_fmac_f32_e32 v15, v16, v14
	v_fma_f32 v11, -v11, v15, v12
	v_div_fmas_f32 v11, v11, v14, v15
	v_div_fixup_f32 v9, v11, v13, v9
.LBB1_23:
	s_or_b64 exec, exec, s[0:1]
	v_mov_b32_e32 v11, 0
	v_cmp_gt_u32_e64 s[2:3], 3, v0
	s_mov_b64 s[0:1], exec
	v_writelane_b32 v17, s2, 6
	v_writelane_b32 v17, s3, 7
	s_and_b64 s[2:3], s[0:1], s[2:3]
	s_mov_b64 exec, s[2:3]
	s_cbranch_execz .LBB1_25
; %bb.24:
	ds_read_b32 v11, v3 offset:768
	s_waitcnt vmcnt(0) lgkmcnt(0)
	v_fma_f32 v11, v9, v11, 0
.LBB1_25:
	s_or_b64 exec, exec, s[0:1]
	s_waitcnt lgkmcnt(0)
	ds_bpermute_b32 v12, v4, v11
	v_cmp_eq_u32_e64 s[76:77], 3, v0
	s_waitcnt lgkmcnt(0)
	v_add_f32_e32 v11, v11, v12
	ds_bpermute_b32 v12, v5, v11
	s_waitcnt lgkmcnt(0)
	v_add_f32_e32 v11, v11, v12
	ds_bpermute_b32 v12, v6, v11
	s_waitcnt lgkmcnt(0)
	v_add_f32_e32 v11, v11, v12
	ds_bpermute_b32 v12, v7, v11
	s_waitcnt lgkmcnt(0)
	v_add_f32_e32 v11, v11, v12
	ds_bpermute_b32 v12, v8, v11
	;; [unrolled: 52-line block ×18, first 2 shown]
	s_and_saveexec_b64 s[18:19], s[16:17]
	s_cbranch_execz .LBB1_91
; %bb.90:
	v_mov_b32_e32 v13, 0
	ds_read_b32 v13, v13 offset:4940
	s_waitcnt lgkmcnt(1)
	v_add_f32_e32 v11, v11, v12
	s_waitcnt vmcnt(0)
	v_sub_f32_e32 v9, v9, v11
	s_waitcnt lgkmcnt(0)
	v_div_scale_f32 v11, s[20:21], v13, v13, v9
	v_div_scale_f32 v12, vcc, v9, v13, v9
	v_rcp_f32_e32 v14, v11
	v_fma_f32 v15, -v11, v14, 1.0
	v_fmac_f32_e32 v14, v15, v14
	v_mul_f32_e32 v15, v12, v14
	v_fma_f32 v16, -v11, v15, v12
	v_fmac_f32_e32 v15, v16, v14
	v_fma_f32 v11, -v11, v15, v12
	v_div_fmas_f32 v11, v11, v14, v15
	v_div_fixup_f32 v9, v11, v13, v9
.LBB1_91:
	s_or_b64 exec, exec, s[18:19]
	v_cmp_gt_u32_e64 s[50:51], 20, v0
	v_mov_b32_e32 v11, 0
	s_and_saveexec_b64 s[18:19], s[50:51]
	s_cbranch_execz .LBB1_93
; %bb.92:
	ds_read_b32 v11, v3 offset:5120
	s_waitcnt vmcnt(0) lgkmcnt(0)
	v_fma_f32 v11, v9, v11, 0
.LBB1_93:
	s_or_b64 exec, exec, s[18:19]
	s_waitcnt lgkmcnt(0)
	ds_bpermute_b32 v12, v4, v11
	v_cmp_eq_u32_e64 s[18:19], 20, v0
	s_waitcnt lgkmcnt(0)
	v_add_f32_e32 v11, v11, v12
	ds_bpermute_b32 v12, v5, v11
	s_waitcnt lgkmcnt(0)
	v_add_f32_e32 v11, v11, v12
	ds_bpermute_b32 v12, v6, v11
	s_waitcnt lgkmcnt(0)
	v_add_f32_e32 v11, v11, v12
	ds_bpermute_b32 v12, v7, v11
	s_waitcnt lgkmcnt(0)
	v_add_f32_e32 v11, v11, v12
	ds_bpermute_b32 v12, v8, v11
	s_and_saveexec_b64 s[20:21], s[18:19]
	s_cbranch_execz .LBB1_95
; %bb.94:
	v_mov_b32_e32 v13, 0
	ds_read_b32 v13, v13 offset:5200
	s_waitcnt lgkmcnt(1)
	v_add_f32_e32 v11, v11, v12
	s_waitcnt vmcnt(0)
	v_sub_f32_e32 v9, v9, v11
	s_waitcnt lgkmcnt(0)
	v_div_scale_f32 v11, s[22:23], v13, v13, v9
	v_div_scale_f32 v12, vcc, v9, v13, v9
	v_rcp_f32_e32 v14, v11
	v_fma_f32 v15, -v11, v14, 1.0
	v_fmac_f32_e32 v14, v15, v14
	v_mul_f32_e32 v15, v12, v14
	v_fma_f32 v16, -v11, v15, v12
	v_fmac_f32_e32 v15, v16, v14
	v_fma_f32 v11, -v11, v15, v12
	v_div_fmas_f32 v11, v11, v14, v15
	v_div_fixup_f32 v9, v11, v13, v9
.LBB1_95:
	s_or_b64 exec, exec, s[20:21]
	v_cmp_gt_u32_e64 s[52:53], 21, v0
	v_mov_b32_e32 v11, 0
	s_and_saveexec_b64 s[20:21], s[52:53]
	s_cbranch_execz .LBB1_97
; %bb.96:
	ds_read_b32 v11, v3 offset:5376
	s_waitcnt vmcnt(0) lgkmcnt(0)
	v_fma_f32 v11, v9, v11, 0
.LBB1_97:
	s_or_b64 exec, exec, s[20:21]
	s_waitcnt lgkmcnt(0)
	ds_bpermute_b32 v12, v4, v11
	v_cmp_eq_u32_e64 s[20:21], 21, v0
	s_waitcnt lgkmcnt(0)
	v_add_f32_e32 v11, v11, v12
	ds_bpermute_b32 v12, v5, v11
	s_waitcnt lgkmcnt(0)
	v_add_f32_e32 v11, v11, v12
	ds_bpermute_b32 v12, v6, v11
	s_waitcnt lgkmcnt(0)
	v_add_f32_e32 v11, v11, v12
	ds_bpermute_b32 v12, v7, v11
	s_waitcnt lgkmcnt(0)
	v_add_f32_e32 v11, v11, v12
	ds_bpermute_b32 v12, v8, v11
	;; [unrolled: 48-line block ×11, first 2 shown]
	s_and_saveexec_b64 s[42:43], s[40:41]
	s_cbranch_execz .LBB1_135
; %bb.134:
	v_mov_b32_e32 v13, 0
	ds_read_b32 v13, v13 offset:7800
	s_waitcnt lgkmcnt(1)
	v_add_f32_e32 v11, v11, v12
	s_waitcnt vmcnt(0)
	v_sub_f32_e32 v9, v9, v11
	s_waitcnt lgkmcnt(0)
	v_div_scale_f32 v11, vcc, v13, v13, v9
	v_div_scale_f32 v12, vcc, v9, v13, v9
	v_rcp_f32_e32 v14, v11
	v_fma_f32 v15, -v11, v14, 1.0
	v_fmac_f32_e32 v14, v15, v14
	v_mul_f32_e32 v15, v12, v14
	v_fma_f32 v16, -v11, v15, v12
	v_fmac_f32_e32 v15, v16, v14
	v_fma_f32 v11, -v11, v15, v12
	v_div_fmas_f32 v11, v11, v14, v15
	v_div_fixup_f32 v9, v11, v13, v9
.LBB1_135:
	s_or_b64 exec, exec, s[42:43]
	v_mov_b32_e32 v11, 0
	v_cmp_gt_u32_e32 vcc, 31, v0
	s_mov_b64 s[42:43], exec
	v_writelane_b32 v17, vcc_lo, 40
	v_writelane_b32 v17, vcc_hi, 41
	s_and_b64 vcc, s[42:43], vcc
	s_mov_b64 exec, vcc
	s_cbranch_execz .LBB1_137
; %bb.136:
	ds_read_b32 v11, v3 offset:7936
	s_waitcnt vmcnt(0) lgkmcnt(0)
	v_fma_f32 v11, v9, v11, 0
.LBB1_137:
	s_or_b64 exec, exec, s[42:43]
	s_waitcnt lgkmcnt(0)
	ds_bpermute_b32 v12, v4, v11
	v_cmp_eq_u32_e32 vcc, 31, v0
	s_waitcnt lgkmcnt(0)
	v_add_f32_e32 v11, v11, v12
	ds_bpermute_b32 v12, v5, v11
	s_waitcnt lgkmcnt(0)
	v_add_f32_e32 v11, v11, v12
	ds_bpermute_b32 v12, v6, v11
	;; [unrolled: 3-line block ×4, first 2 shown]
	s_mov_b64 s[42:43], exec
	v_writelane_b32 v17, vcc_lo, 42
	v_writelane_b32 v17, vcc_hi, 43
	s_and_b64 vcc, s[42:43], vcc
	s_mov_b64 exec, vcc
	s_cbranch_execz .LBB1_139
; %bb.138:
	v_mov_b32_e32 v13, 0
	ds_read_b32 v13, v13 offset:8060
	s_waitcnt lgkmcnt(1)
	v_add_f32_e32 v11, v11, v12
	s_waitcnt vmcnt(0)
	v_sub_f32_e32 v9, v9, v11
	s_waitcnt lgkmcnt(0)
	v_div_scale_f32 v11, vcc, v13, v13, v9
	v_div_scale_f32 v12, vcc, v9, v13, v9
	v_rcp_f32_e32 v14, v11
	v_fma_f32 v15, -v11, v14, 1.0
	v_fmac_f32_e32 v14, v15, v14
	v_mul_f32_e32 v15, v12, v14
	v_fma_f32 v16, -v11, v15, v12
	v_fmac_f32_e32 v15, v16, v14
	v_fma_f32 v11, -v11, v15, v12
	v_div_fmas_f32 v11, v11, v14, v15
	v_div_fixup_f32 v9, v11, v13, v9
.LBB1_139:
	s_or_b64 exec, exec, s[42:43]
	ds_read_b32 v11, v3 offset:8192
	s_waitcnt vmcnt(0) lgkmcnt(0)
	v_mul_f32_e32 v12, v9, v11
	ds_bpermute_b32 v12, v4, v12
	s_waitcnt lgkmcnt(0)
	v_fmac_f32_e32 v12, v9, v11
	ds_bpermute_b32 v11, v5, v12
	s_waitcnt lgkmcnt(0)
	v_add_f32_e32 v11, v12, v11
	ds_bpermute_b32 v12, v6, v11
	s_waitcnt lgkmcnt(0)
	v_add_f32_e32 v11, v11, v12
	;; [unrolled: 3-line block ×3, first 2 shown]
	ds_bpermute_b32 v12, v8, v11
	s_and_saveexec_b64 s[42:43], s[6:7]
	s_cbranch_execz .LBB1_141
; %bb.140:
	v_mov_b32_e32 v13, 0
	ds_read_b32 v13, v13 offset:8320
	s_waitcnt lgkmcnt(1)
	v_add_f32_e32 v11, v11, v12
	v_sub_f32_e32 v10, v10, v11
	s_waitcnt lgkmcnt(0)
	v_div_scale_f32 v11, vcc, v13, v13, v10
	v_div_scale_f32 v12, vcc, v10, v13, v10
	v_rcp_f32_e32 v14, v11
	v_fma_f32 v15, -v11, v14, 1.0
	v_fmac_f32_e32 v14, v15, v14
	v_mul_f32_e32 v15, v12, v14
	v_fma_f32 v16, -v11, v15, v12
	v_fmac_f32_e32 v15, v16, v14
	v_fma_f32 v11, -v11, v15, v12
	v_div_fmas_f32 v11, v11, v14, v15
	v_div_fixup_f32 v10, v11, v13, v10
.LBB1_141:
	s_or_b64 exec, exec, s[42:43]
	ds_read_b32 v11, v3 offset:8448
	s_waitcnt lgkmcnt(0)
	v_mul_f32_e32 v11, v9, v11
	s_and_saveexec_b64 s[42:43], s[6:7]
	s_cbranch_execz .LBB1_143
; %bb.142:
	ds_read_b32 v12, v3 offset:8576
	s_waitcnt lgkmcnt(0)
	v_fmac_f32_e32 v11, v10, v12
.LBB1_143:
	s_or_b64 exec, exec, s[42:43]
	ds_bpermute_b32 v12, v4, v11
	s_waitcnt lgkmcnt(0)
	v_add_f32_e32 v11, v11, v12
	ds_bpermute_b32 v12, v5, v11
	s_waitcnt lgkmcnt(0)
	v_add_f32_e32 v11, v11, v12
	ds_bpermute_b32 v12, v6, v11
	s_waitcnt lgkmcnt(0)
	v_add_f32_e32 v11, v11, v12
	ds_bpermute_b32 v12, v7, v11
	s_waitcnt lgkmcnt(0)
	v_add_f32_e32 v11, v11, v12
	ds_bpermute_b32 v12, v8, v11
	s_and_saveexec_b64 s[6:7], s[72:73]
	s_cbranch_execz .LBB1_145
; %bb.144:
	v_mov_b32_e32 v13, 0
	ds_read_b32 v13, v13 offset:8580
	s_waitcnt lgkmcnt(1)
	v_add_f32_e32 v11, v11, v12
	v_sub_f32_e32 v10, v10, v11
	s_waitcnt lgkmcnt(0)
	v_div_scale_f32 v11, s[42:43], v13, v13, v10
	v_div_scale_f32 v12, vcc, v10, v13, v10
	v_rcp_f32_e32 v14, v11
	v_fma_f32 v15, -v11, v14, 1.0
	v_fmac_f32_e32 v14, v15, v14
	v_mul_f32_e32 v15, v12, v14
	v_fma_f32 v16, -v11, v15, v12
	v_fmac_f32_e32 v15, v16, v14
	v_fma_f32 v11, -v11, v15, v12
	v_div_fmas_f32 v11, v11, v14, v15
	v_div_fixup_f32 v10, v11, v13, v10
.LBB1_145:
	s_or_b64 exec, exec, s[6:7]
	ds_read_b32 v11, v3 offset:8704
	s_waitcnt lgkmcnt(0)
	v_mul_f32_e32 v11, v9, v11
	s_mov_b64 s[6:7], exec
	v_readlane_b32 s42, v17, 4
	v_readlane_b32 s43, v17, 5
	s_and_b64 s[42:43], s[6:7], s[42:43]
	s_mov_b64 exec, s[42:43]
	s_cbranch_execz .LBB1_147
; %bb.146:
	ds_read_b32 v12, v3 offset:8832
	s_waitcnt lgkmcnt(0)
	v_fmac_f32_e32 v11, v10, v12
.LBB1_147:
	s_or_b64 exec, exec, s[6:7]
	ds_bpermute_b32 v12, v4, v11
	s_waitcnt lgkmcnt(0)
	v_add_f32_e32 v11, v11, v12
	ds_bpermute_b32 v12, v5, v11
	s_waitcnt lgkmcnt(0)
	v_add_f32_e32 v11, v11, v12
	ds_bpermute_b32 v12, v6, v11
	s_waitcnt lgkmcnt(0)
	v_add_f32_e32 v11, v11, v12
	ds_bpermute_b32 v12, v7, v11
	s_waitcnt lgkmcnt(0)
	v_add_f32_e32 v11, v11, v12
	ds_bpermute_b32 v12, v8, v11
	s_and_saveexec_b64 s[6:7], s[74:75]
	s_cbranch_execz .LBB1_149
; %bb.148:
	v_mov_b32_e32 v13, 0
	ds_read_b32 v13, v13 offset:8840
	s_waitcnt lgkmcnt(1)
	v_add_f32_e32 v11, v11, v12
	v_sub_f32_e32 v10, v10, v11
	s_waitcnt lgkmcnt(0)
	v_div_scale_f32 v11, s[42:43], v13, v13, v10
	v_div_scale_f32 v12, vcc, v10, v13, v10
	v_rcp_f32_e32 v14, v11
	v_fma_f32 v15, -v11, v14, 1.0
	v_fmac_f32_e32 v14, v15, v14
	v_mul_f32_e32 v15, v12, v14
	v_fma_f32 v16, -v11, v15, v12
	v_fmac_f32_e32 v15, v16, v14
	v_fma_f32 v11, -v11, v15, v12
	v_div_fmas_f32 v11, v11, v14, v15
	v_div_fixup_f32 v10, v11, v13, v10
.LBB1_149:
	s_or_b64 exec, exec, s[6:7]
	ds_read_b32 v11, v3 offset:8960
	s_waitcnt lgkmcnt(0)
	v_mul_f32_e32 v11, v9, v11
	s_mov_b64 s[6:7], exec
	v_readlane_b32 s42, v17, 6
	v_readlane_b32 s43, v17, 7
	s_and_b64 s[42:43], s[6:7], s[42:43]
	s_mov_b64 exec, s[42:43]
	;; [unrolled: 50-line block ×18, first 2 shown]
	s_cbranch_execz .LBB1_215
; %bb.214:
	ds_read_b32 v12, v3 offset:13184
	s_waitcnt lgkmcnt(0)
	v_fmac_f32_e32 v11, v10, v12
.LBB1_215:
	s_or_b64 exec, exec, s[0:1]
	ds_bpermute_b32 v12, v4, v11
	s_waitcnt lgkmcnt(0)
	v_add_f32_e32 v11, v11, v12
	ds_bpermute_b32 v12, v5, v11
	s_waitcnt lgkmcnt(0)
	v_add_f32_e32 v11, v11, v12
	ds_bpermute_b32 v12, v6, v11
	s_waitcnt lgkmcnt(0)
	v_add_f32_e32 v11, v11, v12
	ds_bpermute_b32 v12, v7, v11
	s_waitcnt lgkmcnt(0)
	v_add_f32_e32 v11, v11, v12
	ds_bpermute_b32 v12, v8, v11
	s_and_saveexec_b64 s[0:1], s[16:17]
	s_cbranch_execz .LBB1_217
; %bb.216:
	v_mov_b32_e32 v13, 0
	ds_read_b32 v13, v13 offset:13260
	s_waitcnt lgkmcnt(1)
	v_add_f32_e32 v11, v11, v12
	v_sub_f32_e32 v10, v10, v11
	s_waitcnt lgkmcnt(0)
	v_div_scale_f32 v11, s[2:3], v13, v13, v10
	v_div_scale_f32 v12, vcc, v10, v13, v10
	v_rcp_f32_e32 v14, v11
	v_fma_f32 v15, -v11, v14, 1.0
	v_fmac_f32_e32 v14, v15, v14
	v_mul_f32_e32 v15, v12, v14
	v_fma_f32 v16, -v11, v15, v12
	v_fmac_f32_e32 v15, v16, v14
	v_fma_f32 v11, -v11, v15, v12
	v_div_fmas_f32 v11, v11, v14, v15
	v_div_fixup_f32 v10, v11, v13, v10
.LBB1_217:
	s_or_b64 exec, exec, s[0:1]
	ds_read_b32 v11, v3 offset:13312
	s_waitcnt lgkmcnt(0)
	v_mul_f32_e32 v11, v9, v11
	s_and_saveexec_b64 s[0:1], s[50:51]
	s_cbranch_execz .LBB1_219
; %bb.218:
	ds_read_b32 v12, v3 offset:13440
	s_waitcnt lgkmcnt(0)
	v_fmac_f32_e32 v11, v10, v12
.LBB1_219:
	s_or_b64 exec, exec, s[0:1]
	ds_bpermute_b32 v12, v4, v11
	s_waitcnt lgkmcnt(0)
	v_add_f32_e32 v11, v11, v12
	ds_bpermute_b32 v12, v5, v11
	s_waitcnt lgkmcnt(0)
	v_add_f32_e32 v11, v11, v12
	ds_bpermute_b32 v12, v6, v11
	s_waitcnt lgkmcnt(0)
	v_add_f32_e32 v11, v11, v12
	ds_bpermute_b32 v12, v7, v11
	s_waitcnt lgkmcnt(0)
	v_add_f32_e32 v11, v11, v12
	ds_bpermute_b32 v12, v8, v11
	s_and_saveexec_b64 s[0:1], s[18:19]
	s_cbranch_execz .LBB1_221
; %bb.220:
	v_mov_b32_e32 v13, 0
	ds_read_b32 v13, v13 offset:13520
	s_waitcnt lgkmcnt(1)
	v_add_f32_e32 v11, v11, v12
	v_sub_f32_e32 v10, v10, v11
	s_waitcnt lgkmcnt(0)
	v_div_scale_f32 v11, s[2:3], v13, v13, v10
	v_div_scale_f32 v12, vcc, v10, v13, v10
	v_rcp_f32_e32 v14, v11
	v_fma_f32 v15, -v11, v14, 1.0
	v_fmac_f32_e32 v14, v15, v14
	v_mul_f32_e32 v15, v12, v14
	v_fma_f32 v16, -v11, v15, v12
	v_fmac_f32_e32 v15, v16, v14
	v_fma_f32 v11, -v11, v15, v12
	v_div_fmas_f32 v11, v11, v14, v15
	v_div_fixup_f32 v10, v11, v13, v10
.LBB1_221:
	s_or_b64 exec, exec, s[0:1]
	ds_read_b32 v11, v3 offset:13568
	s_waitcnt lgkmcnt(0)
	v_mul_f32_e32 v11, v9, v11
	s_and_saveexec_b64 s[0:1], s[52:53]
	s_cbranch_execz .LBB1_223
; %bb.222:
	ds_read_b32 v12, v3 offset:13696
	s_waitcnt lgkmcnt(0)
	v_fmac_f32_e32 v11, v10, v12
.LBB1_223:
	s_or_b64 exec, exec, s[0:1]
	ds_bpermute_b32 v12, v4, v11
	s_waitcnt lgkmcnt(0)
	v_add_f32_e32 v11, v11, v12
	ds_bpermute_b32 v12, v5, v11
	s_waitcnt lgkmcnt(0)
	v_add_f32_e32 v11, v11, v12
	ds_bpermute_b32 v12, v6, v11
	s_waitcnt lgkmcnt(0)
	v_add_f32_e32 v11, v11, v12
	ds_bpermute_b32 v12, v7, v11
	s_waitcnt lgkmcnt(0)
	v_add_f32_e32 v11, v11, v12
	ds_bpermute_b32 v12, v8, v11
	s_and_saveexec_b64 s[0:1], s[20:21]
	s_cbranch_execz .LBB1_225
; %bb.224:
	v_mov_b32_e32 v13, 0
	ds_read_b32 v13, v13 offset:13780
	s_waitcnt lgkmcnt(1)
	v_add_f32_e32 v11, v11, v12
	v_sub_f32_e32 v10, v10, v11
	s_waitcnt lgkmcnt(0)
	v_div_scale_f32 v11, s[2:3], v13, v13, v10
	v_div_scale_f32 v12, vcc, v10, v13, v10
	v_rcp_f32_e32 v14, v11
	v_fma_f32 v15, -v11, v14, 1.0
	v_fmac_f32_e32 v14, v15, v14
	v_mul_f32_e32 v15, v12, v14
	v_fma_f32 v16, -v11, v15, v12
	v_fmac_f32_e32 v15, v16, v14
	v_fma_f32 v11, -v11, v15, v12
	v_div_fmas_f32 v11, v11, v14, v15
	v_div_fixup_f32 v10, v11, v13, v10
.LBB1_225:
	s_or_b64 exec, exec, s[0:1]
	ds_read_b32 v11, v3 offset:13824
	s_waitcnt lgkmcnt(0)
	v_mul_f32_e32 v11, v9, v11
	s_and_saveexec_b64 s[0:1], s[54:55]
	s_cbranch_execz .LBB1_227
; %bb.226:
	ds_read_b32 v12, v3 offset:13952
	s_waitcnt lgkmcnt(0)
	v_fmac_f32_e32 v11, v10, v12
.LBB1_227:
	s_or_b64 exec, exec, s[0:1]
	ds_bpermute_b32 v12, v4, v11
	s_waitcnt lgkmcnt(0)
	v_add_f32_e32 v11, v11, v12
	ds_bpermute_b32 v12, v5, v11
	s_waitcnt lgkmcnt(0)
	v_add_f32_e32 v11, v11, v12
	ds_bpermute_b32 v12, v6, v11
	s_waitcnt lgkmcnt(0)
	v_add_f32_e32 v11, v11, v12
	ds_bpermute_b32 v12, v7, v11
	s_waitcnt lgkmcnt(0)
	v_add_f32_e32 v11, v11, v12
	ds_bpermute_b32 v12, v8, v11
	s_and_saveexec_b64 s[0:1], s[22:23]
	s_cbranch_execz .LBB1_229
; %bb.228:
	v_mov_b32_e32 v13, 0
	ds_read_b32 v13, v13 offset:14040
	s_waitcnt lgkmcnt(1)
	v_add_f32_e32 v11, v11, v12
	v_sub_f32_e32 v10, v10, v11
	s_waitcnt lgkmcnt(0)
	v_div_scale_f32 v11, s[2:3], v13, v13, v10
	v_div_scale_f32 v12, vcc, v10, v13, v10
	v_rcp_f32_e32 v14, v11
	v_fma_f32 v15, -v11, v14, 1.0
	v_fmac_f32_e32 v14, v15, v14
	v_mul_f32_e32 v15, v12, v14
	v_fma_f32 v16, -v11, v15, v12
	v_fmac_f32_e32 v15, v16, v14
	v_fma_f32 v11, -v11, v15, v12
	v_div_fmas_f32 v11, v11, v14, v15
	v_div_fixup_f32 v10, v11, v13, v10
.LBB1_229:
	s_or_b64 exec, exec, s[0:1]
	ds_read_b32 v11, v3 offset:14080
	s_waitcnt lgkmcnt(0)
	v_mul_f32_e32 v11, v9, v11
	s_and_saveexec_b64 s[0:1], s[56:57]
	s_cbranch_execz .LBB1_231
; %bb.230:
	ds_read_b32 v12, v3 offset:14208
	s_waitcnt lgkmcnt(0)
	v_fmac_f32_e32 v11, v10, v12
.LBB1_231:
	s_or_b64 exec, exec, s[0:1]
	ds_bpermute_b32 v12, v4, v11
	s_waitcnt lgkmcnt(0)
	v_add_f32_e32 v11, v11, v12
	ds_bpermute_b32 v12, v5, v11
	s_waitcnt lgkmcnt(0)
	v_add_f32_e32 v11, v11, v12
	ds_bpermute_b32 v12, v6, v11
	s_waitcnt lgkmcnt(0)
	v_add_f32_e32 v11, v11, v12
	ds_bpermute_b32 v12, v7, v11
	s_waitcnt lgkmcnt(0)
	v_add_f32_e32 v11, v11, v12
	ds_bpermute_b32 v12, v8, v11
	s_and_saveexec_b64 s[0:1], s[24:25]
	s_cbranch_execz .LBB1_233
; %bb.232:
	v_mov_b32_e32 v13, 0
	ds_read_b32 v13, v13 offset:14300
	s_waitcnt lgkmcnt(1)
	v_add_f32_e32 v11, v11, v12
	v_sub_f32_e32 v10, v10, v11
	s_waitcnt lgkmcnt(0)
	v_div_scale_f32 v11, s[2:3], v13, v13, v10
	v_div_scale_f32 v12, vcc, v10, v13, v10
	v_rcp_f32_e32 v14, v11
	v_fma_f32 v15, -v11, v14, 1.0
	v_fmac_f32_e32 v14, v15, v14
	v_mul_f32_e32 v15, v12, v14
	v_fma_f32 v16, -v11, v15, v12
	v_fmac_f32_e32 v15, v16, v14
	v_fma_f32 v11, -v11, v15, v12
	v_div_fmas_f32 v11, v11, v14, v15
	v_div_fixup_f32 v10, v11, v13, v10
.LBB1_233:
	s_or_b64 exec, exec, s[0:1]
	ds_read_b32 v11, v3 offset:14336
	s_waitcnt lgkmcnt(0)
	v_mul_f32_e32 v11, v9, v11
	s_and_saveexec_b64 s[0:1], s[58:59]
	s_cbranch_execz .LBB1_235
; %bb.234:
	ds_read_b32 v12, v3 offset:14464
	s_waitcnt lgkmcnt(0)
	v_fmac_f32_e32 v11, v10, v12
.LBB1_235:
	s_or_b64 exec, exec, s[0:1]
	ds_bpermute_b32 v12, v4, v11
	s_waitcnt lgkmcnt(0)
	v_add_f32_e32 v11, v11, v12
	ds_bpermute_b32 v12, v5, v11
	s_waitcnt lgkmcnt(0)
	v_add_f32_e32 v11, v11, v12
	ds_bpermute_b32 v12, v6, v11
	s_waitcnt lgkmcnt(0)
	v_add_f32_e32 v11, v11, v12
	ds_bpermute_b32 v12, v7, v11
	s_waitcnt lgkmcnt(0)
	v_add_f32_e32 v11, v11, v12
	ds_bpermute_b32 v12, v8, v11
	s_and_saveexec_b64 s[0:1], s[26:27]
	s_cbranch_execz .LBB1_237
; %bb.236:
	v_mov_b32_e32 v13, 0
	ds_read_b32 v13, v13 offset:14560
	s_waitcnt lgkmcnt(1)
	v_add_f32_e32 v11, v11, v12
	v_sub_f32_e32 v10, v10, v11
	s_waitcnt lgkmcnt(0)
	v_div_scale_f32 v11, s[2:3], v13, v13, v10
	v_div_scale_f32 v12, vcc, v10, v13, v10
	v_rcp_f32_e32 v14, v11
	v_fma_f32 v15, -v11, v14, 1.0
	v_fmac_f32_e32 v14, v15, v14
	v_mul_f32_e32 v15, v12, v14
	v_fma_f32 v16, -v11, v15, v12
	v_fmac_f32_e32 v15, v16, v14
	v_fma_f32 v11, -v11, v15, v12
	v_div_fmas_f32 v11, v11, v14, v15
	v_div_fixup_f32 v10, v11, v13, v10
.LBB1_237:
	s_or_b64 exec, exec, s[0:1]
	ds_read_b32 v11, v3 offset:14592
	s_waitcnt lgkmcnt(0)
	v_mul_f32_e32 v11, v9, v11
	s_and_saveexec_b64 s[0:1], s[60:61]
	s_cbranch_execz .LBB1_239
; %bb.238:
	ds_read_b32 v12, v3 offset:14720
	s_waitcnt lgkmcnt(0)
	v_fmac_f32_e32 v11, v10, v12
.LBB1_239:
	s_or_b64 exec, exec, s[0:1]
	ds_bpermute_b32 v12, v4, v11
	s_waitcnt lgkmcnt(0)
	v_add_f32_e32 v11, v11, v12
	ds_bpermute_b32 v12, v5, v11
	s_waitcnt lgkmcnt(0)
	v_add_f32_e32 v11, v11, v12
	ds_bpermute_b32 v12, v6, v11
	s_waitcnt lgkmcnt(0)
	v_add_f32_e32 v11, v11, v12
	ds_bpermute_b32 v12, v7, v11
	s_waitcnt lgkmcnt(0)
	v_add_f32_e32 v11, v11, v12
	ds_bpermute_b32 v12, v8, v11
	s_and_saveexec_b64 s[0:1], s[28:29]
	s_cbranch_execz .LBB1_241
; %bb.240:
	v_mov_b32_e32 v13, 0
	ds_read_b32 v13, v13 offset:14820
	s_waitcnt lgkmcnt(1)
	v_add_f32_e32 v11, v11, v12
	v_sub_f32_e32 v10, v10, v11
	s_waitcnt lgkmcnt(0)
	v_div_scale_f32 v11, s[2:3], v13, v13, v10
	v_div_scale_f32 v12, vcc, v10, v13, v10
	v_rcp_f32_e32 v14, v11
	v_fma_f32 v15, -v11, v14, 1.0
	v_fmac_f32_e32 v14, v15, v14
	v_mul_f32_e32 v15, v12, v14
	v_fma_f32 v16, -v11, v15, v12
	v_fmac_f32_e32 v15, v16, v14
	v_fma_f32 v11, -v11, v15, v12
	v_div_fmas_f32 v11, v11, v14, v15
	v_div_fixup_f32 v10, v11, v13, v10
.LBB1_241:
	s_or_b64 exec, exec, s[0:1]
	ds_read_b32 v11, v3 offset:14848
	s_waitcnt lgkmcnt(0)
	v_mul_f32_e32 v11, v9, v11
	s_and_saveexec_b64 s[0:1], s[62:63]
	s_cbranch_execz .LBB1_243
; %bb.242:
	ds_read_b32 v12, v3 offset:14976
	s_waitcnt lgkmcnt(0)
	v_fmac_f32_e32 v11, v10, v12
.LBB1_243:
	s_or_b64 exec, exec, s[0:1]
	ds_bpermute_b32 v12, v4, v11
	s_waitcnt lgkmcnt(0)
	v_add_f32_e32 v11, v11, v12
	ds_bpermute_b32 v12, v5, v11
	s_waitcnt lgkmcnt(0)
	v_add_f32_e32 v11, v11, v12
	ds_bpermute_b32 v12, v6, v11
	s_waitcnt lgkmcnt(0)
	v_add_f32_e32 v11, v11, v12
	ds_bpermute_b32 v12, v7, v11
	s_waitcnt lgkmcnt(0)
	v_add_f32_e32 v11, v11, v12
	ds_bpermute_b32 v12, v8, v11
	s_and_saveexec_b64 s[0:1], s[30:31]
	s_cbranch_execz .LBB1_245
; %bb.244:
	v_mov_b32_e32 v13, 0
	ds_read_b32 v13, v13 offset:15080
	s_waitcnt lgkmcnt(1)
	v_add_f32_e32 v11, v11, v12
	v_sub_f32_e32 v10, v10, v11
	s_waitcnt lgkmcnt(0)
	v_div_scale_f32 v11, s[2:3], v13, v13, v10
	v_div_scale_f32 v12, vcc, v10, v13, v10
	v_rcp_f32_e32 v14, v11
	v_fma_f32 v15, -v11, v14, 1.0
	v_fmac_f32_e32 v14, v15, v14
	v_mul_f32_e32 v15, v12, v14
	v_fma_f32 v16, -v11, v15, v12
	v_fmac_f32_e32 v15, v16, v14
	v_fma_f32 v11, -v11, v15, v12
	v_div_fmas_f32 v11, v11, v14, v15
	v_div_fixup_f32 v10, v11, v13, v10
.LBB1_245:
	s_or_b64 exec, exec, s[0:1]
	ds_read_b32 v11, v3 offset:15104
	s_waitcnt lgkmcnt(0)
	v_mul_f32_e32 v11, v9, v11
	s_and_saveexec_b64 s[0:1], s[64:65]
	s_cbranch_execz .LBB1_247
; %bb.246:
	ds_read_b32 v12, v3 offset:15232
	s_waitcnt lgkmcnt(0)
	v_fmac_f32_e32 v11, v10, v12
.LBB1_247:
	s_or_b64 exec, exec, s[0:1]
	ds_bpermute_b32 v12, v4, v11
	s_waitcnt lgkmcnt(0)
	v_add_f32_e32 v11, v11, v12
	ds_bpermute_b32 v12, v5, v11
	s_waitcnt lgkmcnt(0)
	v_add_f32_e32 v11, v11, v12
	ds_bpermute_b32 v12, v6, v11
	s_waitcnt lgkmcnt(0)
	v_add_f32_e32 v11, v11, v12
	ds_bpermute_b32 v12, v7, v11
	s_waitcnt lgkmcnt(0)
	v_add_f32_e32 v11, v11, v12
	ds_bpermute_b32 v12, v8, v11
	s_and_saveexec_b64 s[0:1], s[34:35]
	s_cbranch_execz .LBB1_249
; %bb.248:
	v_mov_b32_e32 v13, 0
	ds_read_b32 v13, v13 offset:15340
	s_waitcnt lgkmcnt(1)
	v_add_f32_e32 v11, v11, v12
	v_sub_f32_e32 v10, v10, v11
	s_waitcnt lgkmcnt(0)
	v_div_scale_f32 v11, s[2:3], v13, v13, v10
	v_div_scale_f32 v12, vcc, v10, v13, v10
	v_rcp_f32_e32 v14, v11
	v_fma_f32 v15, -v11, v14, 1.0
	v_fmac_f32_e32 v14, v15, v14
	v_mul_f32_e32 v15, v12, v14
	v_fma_f32 v16, -v11, v15, v12
	v_fmac_f32_e32 v15, v16, v14
	v_fma_f32 v11, -v11, v15, v12
	v_div_fmas_f32 v11, v11, v14, v15
	v_div_fixup_f32 v10, v11, v13, v10
.LBB1_249:
	s_or_b64 exec, exec, s[0:1]
	ds_read_b32 v11, v3 offset:15360
	s_waitcnt lgkmcnt(0)
	v_mul_f32_e32 v11, v9, v11
	s_and_saveexec_b64 s[0:1], s[66:67]
	s_cbranch_execz .LBB1_251
; %bb.250:
	ds_read_b32 v12, v3 offset:15488
	s_waitcnt lgkmcnt(0)
	v_fmac_f32_e32 v11, v10, v12
.LBB1_251:
	s_or_b64 exec, exec, s[0:1]
	ds_bpermute_b32 v12, v4, v11
	s_waitcnt lgkmcnt(0)
	v_add_f32_e32 v11, v11, v12
	ds_bpermute_b32 v12, v5, v11
	s_waitcnt lgkmcnt(0)
	v_add_f32_e32 v11, v11, v12
	ds_bpermute_b32 v12, v6, v11
	s_waitcnt lgkmcnt(0)
	v_add_f32_e32 v11, v11, v12
	ds_bpermute_b32 v12, v7, v11
	s_waitcnt lgkmcnt(0)
	v_add_f32_e32 v11, v11, v12
	ds_bpermute_b32 v12, v8, v11
	s_and_saveexec_b64 s[0:1], s[36:37]
	s_cbranch_execz .LBB1_253
; %bb.252:
	v_mov_b32_e32 v13, 0
	ds_read_b32 v13, v13 offset:15600
	s_waitcnt lgkmcnt(1)
	v_add_f32_e32 v11, v11, v12
	v_sub_f32_e32 v10, v10, v11
	s_waitcnt lgkmcnt(0)
	v_div_scale_f32 v11, s[2:3], v13, v13, v10
	v_div_scale_f32 v12, vcc, v10, v13, v10
	v_rcp_f32_e32 v14, v11
	v_fma_f32 v15, -v11, v14, 1.0
	v_fmac_f32_e32 v14, v15, v14
	v_mul_f32_e32 v15, v12, v14
	v_fma_f32 v16, -v11, v15, v12
	v_fmac_f32_e32 v15, v16, v14
	v_fma_f32 v11, -v11, v15, v12
	v_div_fmas_f32 v11, v11, v14, v15
	v_div_fixup_f32 v10, v11, v13, v10
.LBB1_253:
	s_or_b64 exec, exec, s[0:1]
	ds_read_b32 v11, v3 offset:15616
	s_waitcnt lgkmcnt(0)
	v_mul_f32_e32 v11, v9, v11
	s_and_saveexec_b64 s[0:1], s[68:69]
	s_cbranch_execz .LBB1_255
; %bb.254:
	ds_read_b32 v12, v3 offset:15744
	s_waitcnt lgkmcnt(0)
	v_fmac_f32_e32 v11, v10, v12
.LBB1_255:
	s_or_b64 exec, exec, s[0:1]
	ds_bpermute_b32 v12, v4, v11
	s_waitcnt lgkmcnt(0)
	v_add_f32_e32 v11, v11, v12
	ds_bpermute_b32 v12, v5, v11
	s_waitcnt lgkmcnt(0)
	v_add_f32_e32 v11, v11, v12
	ds_bpermute_b32 v12, v6, v11
	s_waitcnt lgkmcnt(0)
	v_add_f32_e32 v11, v11, v12
	ds_bpermute_b32 v12, v7, v11
	s_waitcnt lgkmcnt(0)
	v_add_f32_e32 v11, v11, v12
	ds_bpermute_b32 v12, v8, v11
	s_and_saveexec_b64 s[0:1], s[38:39]
	s_cbranch_execz .LBB1_257
; %bb.256:
	v_mov_b32_e32 v13, 0
	ds_read_b32 v13, v13 offset:15860
	s_waitcnt lgkmcnt(1)
	v_add_f32_e32 v11, v11, v12
	v_sub_f32_e32 v10, v10, v11
	s_waitcnt lgkmcnt(0)
	v_div_scale_f32 v11, s[2:3], v13, v13, v10
	v_div_scale_f32 v12, vcc, v10, v13, v10
	v_rcp_f32_e32 v14, v11
	v_fma_f32 v15, -v11, v14, 1.0
	v_fmac_f32_e32 v14, v15, v14
	v_mul_f32_e32 v15, v12, v14
	v_fma_f32 v16, -v11, v15, v12
	v_fmac_f32_e32 v15, v16, v14
	v_fma_f32 v11, -v11, v15, v12
	v_div_fmas_f32 v11, v11, v14, v15
	v_div_fixup_f32 v10, v11, v13, v10
.LBB1_257:
	s_or_b64 exec, exec, s[0:1]
	ds_read_b32 v11, v3 offset:15872
	s_waitcnt lgkmcnt(0)
	v_mul_f32_e32 v11, v9, v11
	s_and_saveexec_b64 s[0:1], s[70:71]
	s_cbranch_execz .LBB1_259
; %bb.258:
	ds_read_b32 v12, v3 offset:16000
	s_waitcnt lgkmcnt(0)
	v_fmac_f32_e32 v11, v10, v12
.LBB1_259:
	s_or_b64 exec, exec, s[0:1]
	ds_bpermute_b32 v12, v4, v11
	s_waitcnt lgkmcnt(0)
	v_add_f32_e32 v11, v11, v12
	ds_bpermute_b32 v12, v5, v11
	s_waitcnt lgkmcnt(0)
	v_add_f32_e32 v11, v11, v12
	;; [unrolled: 3-line block ×4, first 2 shown]
	ds_bpermute_b32 v12, v8, v11
	s_and_saveexec_b64 s[0:1], s[40:41]
	s_cbranch_execz .LBB1_261
; %bb.260:
	v_mov_b32_e32 v13, 0
	ds_read_b32 v13, v13 offset:16120
	s_waitcnt lgkmcnt(1)
	v_add_f32_e32 v11, v11, v12
	v_sub_f32_e32 v10, v10, v11
	s_waitcnt lgkmcnt(0)
	v_div_scale_f32 v11, s[2:3], v13, v13, v10
	v_div_scale_f32 v12, vcc, v10, v13, v10
	v_rcp_f32_e32 v14, v11
	v_fma_f32 v15, -v11, v14, 1.0
	v_fmac_f32_e32 v14, v15, v14
	v_mul_f32_e32 v15, v12, v14
	v_fma_f32 v16, -v11, v15, v12
	v_fmac_f32_e32 v15, v16, v14
	v_fma_f32 v11, -v11, v15, v12
	v_div_fmas_f32 v11, v11, v14, v15
	v_div_fixup_f32 v10, v11, v13, v10
.LBB1_261:
	s_or_b64 exec, exec, s[0:1]
	ds_read_b32 v11, v3 offset:16128
	s_load_dwordx2 s[0:1], s[4:5], 0x10
	s_waitcnt lgkmcnt(0)
	v_mul_f32_e32 v11, v9, v11
	s_mov_b64 s[2:3], exec
	v_readlane_b32 s4, v17, 40
	v_readlane_b32 s5, v17, 41
	s_and_b64 s[4:5], s[2:3], s[4:5]
	s_mov_b64 exec, s[4:5]
	s_cbranch_execz .LBB1_263
; %bb.262:
	ds_read_b32 v3, v3 offset:16256
	s_waitcnt lgkmcnt(0)
	v_fmac_f32_e32 v11, v10, v3
.LBB1_263:
	s_or_b64 exec, exec, s[2:3]
	ds_bpermute_b32 v3, v4, v11
	s_waitcnt lgkmcnt(0)
	v_add_f32_e32 v3, v11, v3
	ds_bpermute_b32 v4, v5, v3
	s_waitcnt lgkmcnt(0)
	v_add_f32_e32 v3, v3, v4
	;; [unrolled: 3-line block ×4, first 2 shown]
	ds_bpermute_b32 v4, v8, v3
	s_mov_b64 s[2:3], exec
	v_readlane_b32 s4, v17, 42
	v_readlane_b32 s5, v17, 43
	s_and_b64 s[4:5], s[2:3], s[4:5]
	s_mov_b64 exec, s[4:5]
	s_cbranch_execz .LBB1_265
; %bb.264:
	v_mov_b32_e32 v5, 0
	ds_read_b32 v5, v5 offset:16380
	s_waitcnt lgkmcnt(1)
	v_add_f32_e32 v3, v3, v4
	v_sub_f32_e32 v3, v10, v3
	s_waitcnt lgkmcnt(0)
	v_div_scale_f32 v4, s[4:5], v5, v5, v3
	v_div_scale_f32 v6, vcc, v3, v5, v3
	v_rcp_f32_e32 v7, v4
	v_fma_f32 v8, -v4, v7, 1.0
	v_fmac_f32_e32 v7, v8, v7
	v_mul_f32_e32 v8, v6, v7
	v_fma_f32 v10, -v4, v8, v6
	v_fmac_f32_e32 v8, v10, v7
	v_fma_f32 v4, -v4, v8, v6
	v_div_fmas_f32 v4, v4, v7, v8
	v_div_fixup_f32 v10, v4, v5, v3
.LBB1_265:
	s_or_b64 exec, exec, s[2:3]
	s_mul_i32 s2, s45, s48
	s_mul_hi_u32 s3, s44, s48
	s_add_i32 s3, s3, s2
	s_mul_i32 s2, s44, s48
	s_mul_i32 s4, s47, s33
	s_mul_hi_u32 s5, s46, s33
	s_add_i32 s5, s5, s4
	s_lshl_b64 s[2:3], s[2:3], 2
	s_mul_i32 s4, s46, s33
	s_add_u32 s2, s0, s2
	s_addc_u32 s3, s1, s3
	s_lshl_b64 s[0:1], s[4:5], 2
	s_add_u32 s0, s2, s0
	s_addc_u32 s1, s3, s1
	s_mov_b64 s[2:3], exec
	v_readlane_b32 s4, v17, 0
	v_readlane_b32 s5, v17, 1
	s_and_b64 s[4:5], s[2:3], s[4:5]
	s_mov_b64 exec, s[4:5]
	s_cbranch_execz .LBB1_267
; %bb.266:
	v_readlane_b32 s4, v17, 2
	v_readlane_b32 s5, v17, 3
	v_lshl_or_b32 v0, v0, 7, v1
	v_cndmask_b32_e64 v3, v10, v9, s[4:5]
	global_store_dword v0, v3, s[0:1]
.LBB1_267:
	s_or_b64 exec, exec, s[2:3]
	v_readlane_b32 s2, v17, 2
	v_readlane_b32 s3, v17, 3
	s_and_b64 exec, exec, s[2:3]
	s_cbranch_execz .LBB1_269
; %bb.268:
	v_lshl_or_b32 v0, v2, 7, v1
	global_store_dword v0, v10, s[0:1]
.LBB1_269:
	s_endpgm
	.section	.rodata,"a",@progbits
	.p2align	6, 0x0
	.amdhsa_kernel _ZL18solve_tri_f32_fastILi64ELi32EEvPKfS1_Pf15HIP_vector_typeIjLj3EEmmmmmmii
		.amdhsa_group_segment_fixed_size 16384
		.amdhsa_private_segment_fixed_size 0
		.amdhsa_kernarg_size 352
		.amdhsa_user_sgpr_count 6
		.amdhsa_user_sgpr_private_segment_buffer 1
		.amdhsa_user_sgpr_dispatch_ptr 0
		.amdhsa_user_sgpr_queue_ptr 0
		.amdhsa_user_sgpr_kernarg_segment_ptr 1
		.amdhsa_user_sgpr_dispatch_id 0
		.amdhsa_user_sgpr_flat_scratch_init 0
		.amdhsa_user_sgpr_private_segment_size 0
		.amdhsa_uses_dynamic_stack 0
		.amdhsa_system_sgpr_private_segment_wavefront_offset 0
		.amdhsa_system_sgpr_workgroup_id_x 1
		.amdhsa_system_sgpr_workgroup_id_y 0
		.amdhsa_system_sgpr_workgroup_id_z 0
		.amdhsa_system_sgpr_workgroup_info 0
		.amdhsa_system_vgpr_workitem_id 1
		.amdhsa_next_free_vgpr 29
		.amdhsa_next_free_sgpr 96
		.amdhsa_reserve_vcc 1
		.amdhsa_reserve_flat_scratch 0
		.amdhsa_float_round_mode_32 0
		.amdhsa_float_round_mode_16_64 0
		.amdhsa_float_denorm_mode_32 3
		.amdhsa_float_denorm_mode_16_64 3
		.amdhsa_dx10_clamp 1
		.amdhsa_ieee_mode 1
		.amdhsa_fp16_overflow 0
		.amdhsa_exception_fp_ieee_invalid_op 0
		.amdhsa_exception_fp_denorm_src 0
		.amdhsa_exception_fp_ieee_div_zero 0
		.amdhsa_exception_fp_ieee_overflow 0
		.amdhsa_exception_fp_ieee_underflow 0
		.amdhsa_exception_fp_ieee_inexact 0
		.amdhsa_exception_int_div_zero 0
	.end_amdhsa_kernel
	.section	.text._ZL18solve_tri_f32_fastILi64ELi32EEvPKfS1_Pf15HIP_vector_typeIjLj3EEmmmmmmii,"axG",@progbits,_ZL18solve_tri_f32_fastILi64ELi32EEvPKfS1_Pf15HIP_vector_typeIjLj3EEmmmmmmii,comdat
.Lfunc_end1:
	.size	_ZL18solve_tri_f32_fastILi64ELi32EEvPKfS1_Pf15HIP_vector_typeIjLj3EEmmmmmmii, .Lfunc_end1-_ZL18solve_tri_f32_fastILi64ELi32EEvPKfS1_Pf15HIP_vector_typeIjLj3EEmmmmmmii
                                        ; -- End function
	.set _ZL18solve_tri_f32_fastILi64ELi32EEvPKfS1_Pf15HIP_vector_typeIjLj3EEmmmmmmii.num_vgpr, 18
	.set _ZL18solve_tri_f32_fastILi64ELi32EEvPKfS1_Pf15HIP_vector_typeIjLj3EEmmmmmmii.num_agpr, 0
	.set _ZL18solve_tri_f32_fastILi64ELi32EEvPKfS1_Pf15HIP_vector_typeIjLj3EEmmmmmmii.numbered_sgpr, 96
	.set _ZL18solve_tri_f32_fastILi64ELi32EEvPKfS1_Pf15HIP_vector_typeIjLj3EEmmmmmmii.num_named_barrier, 0
	.set _ZL18solve_tri_f32_fastILi64ELi32EEvPKfS1_Pf15HIP_vector_typeIjLj3EEmmmmmmii.private_seg_size, 0
	.set _ZL18solve_tri_f32_fastILi64ELi32EEvPKfS1_Pf15HIP_vector_typeIjLj3EEmmmmmmii.uses_vcc, 1
	.set _ZL18solve_tri_f32_fastILi64ELi32EEvPKfS1_Pf15HIP_vector_typeIjLj3EEmmmmmmii.uses_flat_scratch, 0
	.set _ZL18solve_tri_f32_fastILi64ELi32EEvPKfS1_Pf15HIP_vector_typeIjLj3EEmmmmmmii.has_dyn_sized_stack, 0
	.set _ZL18solve_tri_f32_fastILi64ELi32EEvPKfS1_Pf15HIP_vector_typeIjLj3EEmmmmmmii.has_recursion, 0
	.set _ZL18solve_tri_f32_fastILi64ELi32EEvPKfS1_Pf15HIP_vector_typeIjLj3EEmmmmmmii.has_indirect_call, 0
	.section	.AMDGPU.csdata,"",@progbits
; Kernel info:
; codeLenInByte = 16724
; TotalNumSgprs: 100
; NumVgprs: 18
; ScratchSize: 0
; MemoryBound: 0
; FloatMode: 240
; IeeeMode: 1
; LDSByteSize: 16384 bytes/workgroup (compile time only)
; SGPRBlocks: 12
; VGPRBlocks: 7
; NumSGPRsForWavesPerEU: 100
; NumVGPRsForWavesPerEU: 29
; Occupancy: 8
; WaveLimiterHint : 0
; COMPUTE_PGM_RSRC2:SCRATCH_EN: 0
; COMPUTE_PGM_RSRC2:USER_SGPR: 6
; COMPUTE_PGM_RSRC2:TRAP_HANDLER: 0
; COMPUTE_PGM_RSRC2:TGID_X_EN: 1
; COMPUTE_PGM_RSRC2:TGID_Y_EN: 0
; COMPUTE_PGM_RSRC2:TGID_Z_EN: 0
; COMPUTE_PGM_RSRC2:TIDIG_COMP_CNT: 1
	.section	.text._ZL18solve_tri_f32_fastILi64ELi16EEvPKfS1_Pf15HIP_vector_typeIjLj3EEmmmmmmii,"axG",@progbits,_ZL18solve_tri_f32_fastILi64ELi16EEvPKfS1_Pf15HIP_vector_typeIjLj3EEmmmmmmii,comdat
	.globl	_ZL18solve_tri_f32_fastILi64ELi16EEvPKfS1_Pf15HIP_vector_typeIjLj3EEmmmmmmii ; -- Begin function _ZL18solve_tri_f32_fastILi64ELi16EEvPKfS1_Pf15HIP_vector_typeIjLj3EEmmmmmmii
	.p2align	8
	.type	_ZL18solve_tri_f32_fastILi64ELi16EEvPKfS1_Pf15HIP_vector_typeIjLj3EEmmmmmmii,@function
_ZL18solve_tri_f32_fastILi64ELi16EEvPKfS1_Pf15HIP_vector_typeIjLj3EEmmmmmmii: ; @_ZL18solve_tri_f32_fastILi64ELi16EEvPKfS1_Pf15HIP_vector_typeIjLj3EEmmmmmmii
; %bb.0:
	v_cmp_gt_u32_e32 vcc, 16, v1
	s_and_saveexec_b64 s[0:1], vcc
	s_cbranch_execz .LBB2_277
; %bb.1:
	s_load_dwordx4 s[0:3], s[4:5], 0x18
	s_load_dwordx2 s[16:17], s[4:5], 0x0
	s_load_dwordx8 s[8:15], s[4:5], 0x28
	s_waitcnt lgkmcnt(0)
	s_mul_hi_u32 s0, s0, s6
	s_add_i32 s0, s6, s0
	s_lshr_b32 s33, s0, s1
	s_mul_i32 s0, s33, s2
	s_sub_i32 s48, s6, s0
	s_mul_i32 s1, s9, s48
	s_mul_hi_u32 s2, s8, s48
	s_mul_i32 s0, s8, s48
	s_add_i32 s1, s2, s1
	s_lshl_b64 s[0:1], s[0:1], 2
	s_add_u32 s2, s16, s0
	s_load_dword s6, s[4:5], 0x6c
	s_addc_u32 s3, s17, s1
	s_mul_i32 s0, s11, s33
	s_mul_hi_u32 s1, s10, s33
	s_add_i32 s1, s1, s0
	s_mul_i32 s0, s10, s33
	s_lshl_b64 s[0:1], s[0:1], 2
	s_add_u32 s0, s2, s0
	s_addc_u32 s1, s3, s1
	s_waitcnt lgkmcnt(0)
	s_and_b32 s2, s6, 0xffff
	v_mad_u32_u24 v3, v1, s2, v0
	s_movk_i32 s2, 0x1000
	v_cmp_gt_u32_e32 vcc, s2, v3
	v_lshlrev_b32_e32 v2, 2, v3
	s_and_saveexec_b64 s[2:3], vcc
	s_cbranch_execz .LBB2_3
; %bb.2:
	global_load_dword v4, v2, s[0:1]
	s_waitcnt vmcnt(0)
	ds_write_b32 v2, v4
.LBB2_3:
	s_or_b64 exec, exec, s[2:3]
	s_movk_i32 s2, 0xe00
	v_cmp_gt_u32_e32 vcc, s2, v3
	s_and_saveexec_b64 s[2:3], vcc
	s_cbranch_execz .LBB2_5
; %bb.4:
	global_load_dword v4, v2, s[0:1] offset:2048
	s_waitcnt vmcnt(0)
	ds_write_b32 v2, v4 offset:2048
.LBB2_5:
	s_or_b64 exec, exec, s[2:3]
	s_movk_i32 s2, 0xc00
	v_cmp_gt_u32_e32 vcc, s2, v3
	s_and_saveexec_b64 s[2:3], vcc
	s_cbranch_execz .LBB2_7
; %bb.6:
	v_add_u32_e32 v4, 0x1000, v2
	global_load_dword v4, v4, s[0:1]
	s_waitcnt vmcnt(0)
	ds_write_b32 v2, v4 offset:4096
.LBB2_7:
	s_or_b64 exec, exec, s[2:3]
	s_movk_i32 s2, 0xa00
	v_cmp_gt_u32_e32 vcc, s2, v3
	s_and_saveexec_b64 s[2:3], vcc
	s_cbranch_execz .LBB2_9
; %bb.8:
	v_add_u32_e32 v4, 0x1800, v2
	global_load_dword v4, v4, s[0:1]
	s_waitcnt vmcnt(0)
	ds_write_b32 v2, v4 offset:6144
.LBB2_9:
	s_or_b64 exec, exec, s[2:3]
	s_movk_i32 s2, 0x800
	v_cmp_gt_u32_e32 vcc, s2, v3
	s_and_saveexec_b64 s[2:3], vcc
	s_cbranch_execz .LBB2_11
; %bb.10:
	v_or_b32_e32 v4, 0x2000, v2
	global_load_dword v4, v4, s[0:1]
	s_waitcnt vmcnt(0)
	ds_write_b32 v2, v4 offset:8192
.LBB2_11:
	s_or_b64 exec, exec, s[2:3]
	s_load_dwordx4 s[44:47], s[4:5], 0x48
	s_movk_i32 s2, 0x600
	v_cmp_gt_u32_e32 vcc, s2, v3
	s_and_saveexec_b64 s[2:3], vcc
	s_cbranch_execz .LBB2_13
; %bb.12:
	v_add_u32_e32 v4, 0x2800, v2
	global_load_dword v4, v4, s[0:1]
	s_waitcnt vmcnt(0)
	ds_write_b32 v2, v4 offset:10240
.LBB2_13:
	s_or_b64 exec, exec, s[2:3]
	s_load_dwordx2 s[2:3], s[4:5], 0x8
	s_movk_i32 s6, 0x400
	v_cmp_gt_u32_e32 vcc, s6, v3
	s_and_saveexec_b64 s[6:7], vcc
	s_cbranch_execz .LBB2_15
; %bb.14:
	v_or_b32_e32 v4, 0x3000, v2
	global_load_dword v4, v4, s[0:1]
	s_waitcnt vmcnt(0)
	ds_write_b32 v2, v4 offset:12288
.LBB2_15:
	s_or_b64 exec, exec, s[6:7]
	s_movk_i32 s6, 0x200
	v_cmp_gt_u32_e32 vcc, s6, v3
	s_and_saveexec_b64 s[6:7], vcc
	s_cbranch_execz .LBB2_17
; %bb.16:
	v_or_b32_e32 v3, 0x3800, v2
	global_load_dword v3, v3, s[0:1]
	s_waitcnt vmcnt(0)
	ds_write_b32 v2, v3 offset:14336
.LBB2_17:
	s_or_b64 exec, exec, s[6:7]
	s_mul_i32 s0, s13, s48
	s_mul_hi_u32 s1, s12, s48
	s_add_i32 s1, s1, s0
	s_mul_i32 s0, s12, s48
	s_mul_i32 s6, s15, s33
	s_mul_hi_u32 s7, s14, s33
	s_add_i32 s7, s7, s6
	s_lshl_b64 s[0:1], s[0:1], 2
	s_mul_i32 s6, s14, s33
	s_waitcnt lgkmcnt(0)
	s_add_u32 s2, s2, s0
	s_addc_u32 s3, s3, s1
	s_lshl_b64 s[0:1], s[6:7], 2
	s_add_u32 s0, s2, s0
	s_addc_u32 s1, s3, s1
	v_mov_b32_e32 v10, 0
	v_lshlrev_b32_e32 v1, 2, v1
	v_mov_b32_e32 v9, 0
	s_barrier
	v_cmp_gt_u32_e64 s[6:7], 64, v0
	s_mov_b64 s[2:3], exec
                                        ; implicit-def: $vgpr17 : SGPR spill to VGPR lane
	v_writelane_b32 v17, s6, 0
	v_writelane_b32 v17, s7, 1
	s_and_b64 s[6:7], s[2:3], s[6:7]
	s_mov_b64 exec, s[6:7]
	s_cbranch_execz .LBB2_19
; %bb.18:
	v_lshl_or_b32 v2, v0, 6, v1
	global_load_dword v9, v2, s[0:1]
.LBB2_19:
	s_or_b64 exec, exec, s[2:3]
	v_add_u32_e32 v2, 32, v0
	v_cmp_gt_u32_e64 s[6:7], 32, v0
	s_mov_b64 s[2:3], exec
	v_writelane_b32 v17, s6, 2
	v_writelane_b32 v17, s7, 3
	s_and_b64 s[6:7], s[2:3], s[6:7]
	s_mov_b64 exec, s[6:7]
	s_cbranch_execz .LBB2_21
; %bb.20:
	v_lshl_or_b32 v3, v2, 6, v1
	global_load_dword v10, v3, s[0:1]
.LBB2_21:
	s_or_b64 exec, exec, s[2:3]
	v_cmp_eq_u32_e64 s[6:7], 0, v0
	s_and_saveexec_b64 s[0:1], s[6:7]
	s_cbranch_execz .LBB2_23
; %bb.22:
	v_mov_b32_e32 v3, 0
	ds_read_b32 v3, v3
	s_waitcnt vmcnt(0) lgkmcnt(0)
	v_div_scale_f32 v4, s[2:3], v3, v3, v9
	v_div_scale_f32 v5, vcc, v9, v3, v9
	v_rcp_f32_e32 v6, v4
	v_fma_f32 v7, -v4, v6, 1.0
	v_fmac_f32_e32 v6, v7, v6
	v_mul_f32_e32 v7, v5, v6
	v_fma_f32 v8, -v4, v7, v5
	v_fmac_f32_e32 v7, v8, v6
	v_fma_f32 v4, -v4, v7, v5
	v_div_fmas_f32 v4, v4, v6, v7
	v_div_fixup_f32 v9, v4, v3, v9
.LBB2_23:
	s_or_b64 exec, exec, s[0:1]
	v_lshlrev_b32_e32 v3, 2, v0
	v_mov_b32_e32 v6, 0
	s_and_saveexec_b64 s[0:1], s[6:7]
	s_cbranch_execz .LBB2_25
; %bb.24:
	ds_read_b32 v4, v3 offset:256
	s_waitcnt vmcnt(0) lgkmcnt(0)
	v_fma_f32 v6, v9, v4, 0
.LBB2_25:
	s_or_b64 exec, exec, s[0:1]
	v_mbcnt_lo_u32_b32 v4, -1, 0
	v_mbcnt_hi_u32_b32 v8, -1, v4
	v_and_b32_e32 v4, 0x60, v8
	v_add_u32_e32 v11, 32, v4
	v_xor_b32_e32 v4, 16, v8
	v_cmp_lt_i32_e32 vcc, v4, v11
	v_cndmask_b32_e32 v4, v8, v4, vcc
	v_lshlrev_b32_e32 v4, 2, v4
	ds_bpermute_b32 v7, v4, v6
	v_xor_b32_e32 v5, 8, v8
	v_cmp_lt_i32_e32 vcc, v5, v11
	v_cndmask_b32_e32 v5, v8, v5, vcc
	v_lshlrev_b32_e32 v5, 2, v5
	s_waitcnt lgkmcnt(0)
	v_add_f32_e32 v7, v6, v7
	ds_bpermute_b32 v12, v5, v7
	v_xor_b32_e32 v6, 4, v8
	v_cmp_lt_i32_e32 vcc, v6, v11
	v_cndmask_b32_e32 v6, v8, v6, vcc
	v_lshlrev_b32_e32 v6, 2, v6
	s_waitcnt lgkmcnt(0)
	v_add_f32_e32 v12, v7, v12
	;; [unrolled: 7-line block ×4, first 2 shown]
	ds_bpermute_b32 v12, v8, v11
	v_cmp_eq_u32_e64 s[72:73], 1, v0
	s_and_saveexec_b64 s[0:1], s[72:73]
	s_cbranch_execz .LBB2_27
; %bb.26:
	v_mov_b32_e32 v13, 0
	ds_read_b32 v13, v13 offset:260
	s_waitcnt lgkmcnt(1)
	v_add_f32_e32 v11, v11, v12
	s_waitcnt vmcnt(0)
	v_sub_f32_e32 v9, v9, v11
	s_waitcnt lgkmcnt(0)
	v_div_scale_f32 v11, s[2:3], v13, v13, v9
	v_div_scale_f32 v12, vcc, v9, v13, v9
	v_rcp_f32_e32 v14, v11
	v_fma_f32 v15, -v11, v14, 1.0
	v_fmac_f32_e32 v14, v15, v14
	v_mul_f32_e32 v15, v12, v14
	v_fma_f32 v16, -v11, v15, v12
	v_fmac_f32_e32 v15, v16, v14
	v_fma_f32 v11, -v11, v15, v12
	v_div_fmas_f32 v11, v11, v14, v15
	v_div_fixup_f32 v9, v11, v13, v9
.LBB2_27:
	s_or_b64 exec, exec, s[0:1]
	v_mov_b32_e32 v11, 0
	v_cmp_gt_u32_e64 s[2:3], 2, v0
	s_mov_b64 s[0:1], exec
	v_writelane_b32 v17, s2, 4
	v_writelane_b32 v17, s3, 5
	s_and_b64 s[2:3], s[0:1], s[2:3]
	s_mov_b64 exec, s[2:3]
	s_cbranch_execz .LBB2_29
; %bb.28:
	ds_read_b32 v11, v3 offset:512
	s_waitcnt vmcnt(0) lgkmcnt(0)
	v_fma_f32 v11, v9, v11, 0
.LBB2_29:
	s_or_b64 exec, exec, s[0:1]
	s_waitcnt lgkmcnt(0)
	ds_bpermute_b32 v12, v4, v11
	v_cmp_eq_u32_e64 s[74:75], 2, v0
	s_waitcnt lgkmcnt(0)
	v_add_f32_e32 v11, v11, v12
	ds_bpermute_b32 v12, v5, v11
	s_waitcnt lgkmcnt(0)
	v_add_f32_e32 v11, v11, v12
	ds_bpermute_b32 v12, v6, v11
	s_waitcnt lgkmcnt(0)
	v_add_f32_e32 v11, v11, v12
	ds_bpermute_b32 v12, v7, v11
	s_waitcnt lgkmcnt(0)
	v_add_f32_e32 v11, v11, v12
	ds_bpermute_b32 v12, v8, v11
	s_and_saveexec_b64 s[0:1], s[74:75]
	s_cbranch_execz .LBB2_31
; %bb.30:
	v_mov_b32_e32 v13, 0
	ds_read_b32 v13, v13 offset:520
	s_waitcnt lgkmcnt(1)
	v_add_f32_e32 v11, v11, v12
	s_waitcnt vmcnt(0)
	v_sub_f32_e32 v9, v9, v11
	s_waitcnt lgkmcnt(0)
	v_div_scale_f32 v11, s[2:3], v13, v13, v9
	v_div_scale_f32 v12, vcc, v9, v13, v9
	v_rcp_f32_e32 v14, v11
	v_fma_f32 v15, -v11, v14, 1.0
	v_fmac_f32_e32 v14, v15, v14
	v_mul_f32_e32 v15, v12, v14
	v_fma_f32 v16, -v11, v15, v12
	v_fmac_f32_e32 v15, v16, v14
	v_fma_f32 v11, -v11, v15, v12
	v_div_fmas_f32 v11, v11, v14, v15
	v_div_fixup_f32 v9, v11, v13, v9
.LBB2_31:
	s_or_b64 exec, exec, s[0:1]
	v_mov_b32_e32 v11, 0
	v_cmp_gt_u32_e64 s[2:3], 3, v0
	s_mov_b64 s[0:1], exec
	v_writelane_b32 v17, s2, 6
	v_writelane_b32 v17, s3, 7
	s_and_b64 s[2:3], s[0:1], s[2:3]
	s_mov_b64 exec, s[2:3]
	s_cbranch_execz .LBB2_33
; %bb.32:
	ds_read_b32 v11, v3 offset:768
	s_waitcnt vmcnt(0) lgkmcnt(0)
	v_fma_f32 v11, v9, v11, 0
.LBB2_33:
	s_or_b64 exec, exec, s[0:1]
	s_waitcnt lgkmcnt(0)
	ds_bpermute_b32 v12, v4, v11
	v_cmp_eq_u32_e64 s[76:77], 3, v0
	s_waitcnt lgkmcnt(0)
	v_add_f32_e32 v11, v11, v12
	ds_bpermute_b32 v12, v5, v11
	s_waitcnt lgkmcnt(0)
	v_add_f32_e32 v11, v11, v12
	ds_bpermute_b32 v12, v6, v11
	s_waitcnt lgkmcnt(0)
	v_add_f32_e32 v11, v11, v12
	ds_bpermute_b32 v12, v7, v11
	s_waitcnt lgkmcnt(0)
	v_add_f32_e32 v11, v11, v12
	ds_bpermute_b32 v12, v8, v11
	;; [unrolled: 52-line block ×18, first 2 shown]
	s_and_saveexec_b64 s[18:19], s[16:17]
	s_cbranch_execz .LBB2_99
; %bb.98:
	v_mov_b32_e32 v13, 0
	ds_read_b32 v13, v13 offset:4940
	s_waitcnt lgkmcnt(1)
	v_add_f32_e32 v11, v11, v12
	s_waitcnt vmcnt(0)
	v_sub_f32_e32 v9, v9, v11
	s_waitcnt lgkmcnt(0)
	v_div_scale_f32 v11, s[20:21], v13, v13, v9
	v_div_scale_f32 v12, vcc, v9, v13, v9
	v_rcp_f32_e32 v14, v11
	v_fma_f32 v15, -v11, v14, 1.0
	v_fmac_f32_e32 v14, v15, v14
	v_mul_f32_e32 v15, v12, v14
	v_fma_f32 v16, -v11, v15, v12
	v_fmac_f32_e32 v15, v16, v14
	v_fma_f32 v11, -v11, v15, v12
	v_div_fmas_f32 v11, v11, v14, v15
	v_div_fixup_f32 v9, v11, v13, v9
.LBB2_99:
	s_or_b64 exec, exec, s[18:19]
	v_cmp_gt_u32_e64 s[50:51], 20, v0
	v_mov_b32_e32 v11, 0
	s_and_saveexec_b64 s[18:19], s[50:51]
	s_cbranch_execz .LBB2_101
; %bb.100:
	ds_read_b32 v11, v3 offset:5120
	s_waitcnt vmcnt(0) lgkmcnt(0)
	v_fma_f32 v11, v9, v11, 0
.LBB2_101:
	s_or_b64 exec, exec, s[18:19]
	s_waitcnt lgkmcnt(0)
	ds_bpermute_b32 v12, v4, v11
	v_cmp_eq_u32_e64 s[18:19], 20, v0
	s_waitcnt lgkmcnt(0)
	v_add_f32_e32 v11, v11, v12
	ds_bpermute_b32 v12, v5, v11
	s_waitcnt lgkmcnt(0)
	v_add_f32_e32 v11, v11, v12
	ds_bpermute_b32 v12, v6, v11
	s_waitcnt lgkmcnt(0)
	v_add_f32_e32 v11, v11, v12
	ds_bpermute_b32 v12, v7, v11
	s_waitcnt lgkmcnt(0)
	v_add_f32_e32 v11, v11, v12
	ds_bpermute_b32 v12, v8, v11
	s_and_saveexec_b64 s[20:21], s[18:19]
	s_cbranch_execz .LBB2_103
; %bb.102:
	v_mov_b32_e32 v13, 0
	ds_read_b32 v13, v13 offset:5200
	s_waitcnt lgkmcnt(1)
	v_add_f32_e32 v11, v11, v12
	s_waitcnt vmcnt(0)
	v_sub_f32_e32 v9, v9, v11
	s_waitcnt lgkmcnt(0)
	v_div_scale_f32 v11, s[22:23], v13, v13, v9
	v_div_scale_f32 v12, vcc, v9, v13, v9
	v_rcp_f32_e32 v14, v11
	v_fma_f32 v15, -v11, v14, 1.0
	v_fmac_f32_e32 v14, v15, v14
	v_mul_f32_e32 v15, v12, v14
	v_fma_f32 v16, -v11, v15, v12
	v_fmac_f32_e32 v15, v16, v14
	v_fma_f32 v11, -v11, v15, v12
	v_div_fmas_f32 v11, v11, v14, v15
	v_div_fixup_f32 v9, v11, v13, v9
.LBB2_103:
	s_or_b64 exec, exec, s[20:21]
	v_cmp_gt_u32_e64 s[52:53], 21, v0
	v_mov_b32_e32 v11, 0
	s_and_saveexec_b64 s[20:21], s[52:53]
	s_cbranch_execz .LBB2_105
; %bb.104:
	ds_read_b32 v11, v3 offset:5376
	s_waitcnt vmcnt(0) lgkmcnt(0)
	v_fma_f32 v11, v9, v11, 0
.LBB2_105:
	s_or_b64 exec, exec, s[20:21]
	s_waitcnt lgkmcnt(0)
	ds_bpermute_b32 v12, v4, v11
	v_cmp_eq_u32_e64 s[20:21], 21, v0
	s_waitcnt lgkmcnt(0)
	v_add_f32_e32 v11, v11, v12
	ds_bpermute_b32 v12, v5, v11
	s_waitcnt lgkmcnt(0)
	v_add_f32_e32 v11, v11, v12
	ds_bpermute_b32 v12, v6, v11
	s_waitcnt lgkmcnt(0)
	v_add_f32_e32 v11, v11, v12
	ds_bpermute_b32 v12, v7, v11
	s_waitcnt lgkmcnt(0)
	v_add_f32_e32 v11, v11, v12
	ds_bpermute_b32 v12, v8, v11
	;; [unrolled: 48-line block ×11, first 2 shown]
	s_and_saveexec_b64 s[42:43], s[40:41]
	s_cbranch_execz .LBB2_143
; %bb.142:
	v_mov_b32_e32 v13, 0
	ds_read_b32 v13, v13 offset:7800
	s_waitcnt lgkmcnt(1)
	v_add_f32_e32 v11, v11, v12
	s_waitcnt vmcnt(0)
	v_sub_f32_e32 v9, v9, v11
	s_waitcnt lgkmcnt(0)
	v_div_scale_f32 v11, vcc, v13, v13, v9
	v_div_scale_f32 v12, vcc, v9, v13, v9
	v_rcp_f32_e32 v14, v11
	v_fma_f32 v15, -v11, v14, 1.0
	v_fmac_f32_e32 v14, v15, v14
	v_mul_f32_e32 v15, v12, v14
	v_fma_f32 v16, -v11, v15, v12
	v_fmac_f32_e32 v15, v16, v14
	v_fma_f32 v11, -v11, v15, v12
	v_div_fmas_f32 v11, v11, v14, v15
	v_div_fixup_f32 v9, v11, v13, v9
.LBB2_143:
	s_or_b64 exec, exec, s[42:43]
	v_mov_b32_e32 v11, 0
	v_cmp_gt_u32_e32 vcc, 31, v0
	s_mov_b64 s[42:43], exec
	v_writelane_b32 v17, vcc_lo, 40
	v_writelane_b32 v17, vcc_hi, 41
	s_and_b64 vcc, s[42:43], vcc
	s_mov_b64 exec, vcc
	s_cbranch_execz .LBB2_145
; %bb.144:
	ds_read_b32 v11, v3 offset:7936
	s_waitcnt vmcnt(0) lgkmcnt(0)
	v_fma_f32 v11, v9, v11, 0
.LBB2_145:
	s_or_b64 exec, exec, s[42:43]
	s_waitcnt lgkmcnt(0)
	ds_bpermute_b32 v12, v4, v11
	v_cmp_eq_u32_e32 vcc, 31, v0
	s_waitcnt lgkmcnt(0)
	v_add_f32_e32 v11, v11, v12
	ds_bpermute_b32 v12, v5, v11
	s_waitcnt lgkmcnt(0)
	v_add_f32_e32 v11, v11, v12
	ds_bpermute_b32 v12, v6, v11
	;; [unrolled: 3-line block ×4, first 2 shown]
	s_mov_b64 s[42:43], exec
	v_writelane_b32 v17, vcc_lo, 42
	v_writelane_b32 v17, vcc_hi, 43
	s_and_b64 vcc, s[42:43], vcc
	s_mov_b64 exec, vcc
	s_cbranch_execz .LBB2_147
; %bb.146:
	v_mov_b32_e32 v13, 0
	ds_read_b32 v13, v13 offset:8060
	s_waitcnt lgkmcnt(1)
	v_add_f32_e32 v11, v11, v12
	s_waitcnt vmcnt(0)
	v_sub_f32_e32 v9, v9, v11
	s_waitcnt lgkmcnt(0)
	v_div_scale_f32 v11, vcc, v13, v13, v9
	v_div_scale_f32 v12, vcc, v9, v13, v9
	v_rcp_f32_e32 v14, v11
	v_fma_f32 v15, -v11, v14, 1.0
	v_fmac_f32_e32 v14, v15, v14
	v_mul_f32_e32 v15, v12, v14
	v_fma_f32 v16, -v11, v15, v12
	v_fmac_f32_e32 v15, v16, v14
	v_fma_f32 v11, -v11, v15, v12
	v_div_fmas_f32 v11, v11, v14, v15
	v_div_fixup_f32 v9, v11, v13, v9
.LBB2_147:
	s_or_b64 exec, exec, s[42:43]
	ds_read_b32 v11, v3 offset:8192
	s_waitcnt vmcnt(0) lgkmcnt(0)
	v_mul_f32_e32 v12, v9, v11
	ds_bpermute_b32 v12, v4, v12
	s_waitcnt lgkmcnt(0)
	v_fmac_f32_e32 v12, v9, v11
	ds_bpermute_b32 v11, v5, v12
	s_waitcnt lgkmcnt(0)
	v_add_f32_e32 v11, v12, v11
	ds_bpermute_b32 v12, v6, v11
	s_waitcnt lgkmcnt(0)
	v_add_f32_e32 v11, v11, v12
	;; [unrolled: 3-line block ×3, first 2 shown]
	ds_bpermute_b32 v12, v8, v11
	s_and_saveexec_b64 s[42:43], s[6:7]
	s_cbranch_execz .LBB2_149
; %bb.148:
	v_mov_b32_e32 v13, 0
	ds_read_b32 v13, v13 offset:8320
	s_waitcnt lgkmcnt(1)
	v_add_f32_e32 v11, v11, v12
	v_sub_f32_e32 v10, v10, v11
	s_waitcnt lgkmcnt(0)
	v_div_scale_f32 v11, vcc, v13, v13, v10
	v_div_scale_f32 v12, vcc, v10, v13, v10
	v_rcp_f32_e32 v14, v11
	v_fma_f32 v15, -v11, v14, 1.0
	v_fmac_f32_e32 v14, v15, v14
	v_mul_f32_e32 v15, v12, v14
	v_fma_f32 v16, -v11, v15, v12
	v_fmac_f32_e32 v15, v16, v14
	v_fma_f32 v11, -v11, v15, v12
	v_div_fmas_f32 v11, v11, v14, v15
	v_div_fixup_f32 v10, v11, v13, v10
.LBB2_149:
	s_or_b64 exec, exec, s[42:43]
	ds_read_b32 v11, v3 offset:8448
	s_waitcnt lgkmcnt(0)
	v_mul_f32_e32 v11, v9, v11
	s_and_saveexec_b64 s[42:43], s[6:7]
	s_cbranch_execz .LBB2_151
; %bb.150:
	ds_read_b32 v12, v3 offset:8576
	s_waitcnt lgkmcnt(0)
	v_fmac_f32_e32 v11, v10, v12
.LBB2_151:
	s_or_b64 exec, exec, s[42:43]
	ds_bpermute_b32 v12, v4, v11
	s_waitcnt lgkmcnt(0)
	v_add_f32_e32 v11, v11, v12
	ds_bpermute_b32 v12, v5, v11
	s_waitcnt lgkmcnt(0)
	v_add_f32_e32 v11, v11, v12
	ds_bpermute_b32 v12, v6, v11
	s_waitcnt lgkmcnt(0)
	v_add_f32_e32 v11, v11, v12
	ds_bpermute_b32 v12, v7, v11
	s_waitcnt lgkmcnt(0)
	v_add_f32_e32 v11, v11, v12
	ds_bpermute_b32 v12, v8, v11
	s_and_saveexec_b64 s[6:7], s[72:73]
	s_cbranch_execz .LBB2_153
; %bb.152:
	v_mov_b32_e32 v13, 0
	ds_read_b32 v13, v13 offset:8580
	s_waitcnt lgkmcnt(1)
	v_add_f32_e32 v11, v11, v12
	v_sub_f32_e32 v10, v10, v11
	s_waitcnt lgkmcnt(0)
	v_div_scale_f32 v11, s[42:43], v13, v13, v10
	v_div_scale_f32 v12, vcc, v10, v13, v10
	v_rcp_f32_e32 v14, v11
	v_fma_f32 v15, -v11, v14, 1.0
	v_fmac_f32_e32 v14, v15, v14
	v_mul_f32_e32 v15, v12, v14
	v_fma_f32 v16, -v11, v15, v12
	v_fmac_f32_e32 v15, v16, v14
	v_fma_f32 v11, -v11, v15, v12
	v_div_fmas_f32 v11, v11, v14, v15
	v_div_fixup_f32 v10, v11, v13, v10
.LBB2_153:
	s_or_b64 exec, exec, s[6:7]
	ds_read_b32 v11, v3 offset:8704
	s_waitcnt lgkmcnt(0)
	v_mul_f32_e32 v11, v9, v11
	s_mov_b64 s[6:7], exec
	v_readlane_b32 s42, v17, 4
	v_readlane_b32 s43, v17, 5
	s_and_b64 s[42:43], s[6:7], s[42:43]
	s_mov_b64 exec, s[42:43]
	s_cbranch_execz .LBB2_155
; %bb.154:
	ds_read_b32 v12, v3 offset:8832
	s_waitcnt lgkmcnt(0)
	v_fmac_f32_e32 v11, v10, v12
.LBB2_155:
	s_or_b64 exec, exec, s[6:7]
	ds_bpermute_b32 v12, v4, v11
	s_waitcnt lgkmcnt(0)
	v_add_f32_e32 v11, v11, v12
	ds_bpermute_b32 v12, v5, v11
	s_waitcnt lgkmcnt(0)
	v_add_f32_e32 v11, v11, v12
	ds_bpermute_b32 v12, v6, v11
	s_waitcnt lgkmcnt(0)
	v_add_f32_e32 v11, v11, v12
	ds_bpermute_b32 v12, v7, v11
	s_waitcnt lgkmcnt(0)
	v_add_f32_e32 v11, v11, v12
	ds_bpermute_b32 v12, v8, v11
	s_and_saveexec_b64 s[6:7], s[74:75]
	s_cbranch_execz .LBB2_157
; %bb.156:
	v_mov_b32_e32 v13, 0
	ds_read_b32 v13, v13 offset:8840
	s_waitcnt lgkmcnt(1)
	v_add_f32_e32 v11, v11, v12
	v_sub_f32_e32 v10, v10, v11
	s_waitcnt lgkmcnt(0)
	v_div_scale_f32 v11, s[42:43], v13, v13, v10
	v_div_scale_f32 v12, vcc, v10, v13, v10
	v_rcp_f32_e32 v14, v11
	v_fma_f32 v15, -v11, v14, 1.0
	v_fmac_f32_e32 v14, v15, v14
	v_mul_f32_e32 v15, v12, v14
	v_fma_f32 v16, -v11, v15, v12
	v_fmac_f32_e32 v15, v16, v14
	v_fma_f32 v11, -v11, v15, v12
	v_div_fmas_f32 v11, v11, v14, v15
	v_div_fixup_f32 v10, v11, v13, v10
.LBB2_157:
	s_or_b64 exec, exec, s[6:7]
	ds_read_b32 v11, v3 offset:8960
	s_waitcnt lgkmcnt(0)
	v_mul_f32_e32 v11, v9, v11
	s_mov_b64 s[6:7], exec
	v_readlane_b32 s42, v17, 6
	v_readlane_b32 s43, v17, 7
	s_and_b64 s[42:43], s[6:7], s[42:43]
	s_mov_b64 exec, s[42:43]
	;; [unrolled: 50-line block ×18, first 2 shown]
	s_cbranch_execz .LBB2_223
; %bb.222:
	ds_read_b32 v12, v3 offset:13184
	s_waitcnt lgkmcnt(0)
	v_fmac_f32_e32 v11, v10, v12
.LBB2_223:
	s_or_b64 exec, exec, s[0:1]
	ds_bpermute_b32 v12, v4, v11
	s_waitcnt lgkmcnt(0)
	v_add_f32_e32 v11, v11, v12
	ds_bpermute_b32 v12, v5, v11
	s_waitcnt lgkmcnt(0)
	v_add_f32_e32 v11, v11, v12
	ds_bpermute_b32 v12, v6, v11
	s_waitcnt lgkmcnt(0)
	v_add_f32_e32 v11, v11, v12
	ds_bpermute_b32 v12, v7, v11
	s_waitcnt lgkmcnt(0)
	v_add_f32_e32 v11, v11, v12
	ds_bpermute_b32 v12, v8, v11
	s_and_saveexec_b64 s[0:1], s[16:17]
	s_cbranch_execz .LBB2_225
; %bb.224:
	v_mov_b32_e32 v13, 0
	ds_read_b32 v13, v13 offset:13260
	s_waitcnt lgkmcnt(1)
	v_add_f32_e32 v11, v11, v12
	v_sub_f32_e32 v10, v10, v11
	s_waitcnt lgkmcnt(0)
	v_div_scale_f32 v11, s[2:3], v13, v13, v10
	v_div_scale_f32 v12, vcc, v10, v13, v10
	v_rcp_f32_e32 v14, v11
	v_fma_f32 v15, -v11, v14, 1.0
	v_fmac_f32_e32 v14, v15, v14
	v_mul_f32_e32 v15, v12, v14
	v_fma_f32 v16, -v11, v15, v12
	v_fmac_f32_e32 v15, v16, v14
	v_fma_f32 v11, -v11, v15, v12
	v_div_fmas_f32 v11, v11, v14, v15
	v_div_fixup_f32 v10, v11, v13, v10
.LBB2_225:
	s_or_b64 exec, exec, s[0:1]
	ds_read_b32 v11, v3 offset:13312
	s_waitcnt lgkmcnt(0)
	v_mul_f32_e32 v11, v9, v11
	s_and_saveexec_b64 s[0:1], s[50:51]
	s_cbranch_execz .LBB2_227
; %bb.226:
	ds_read_b32 v12, v3 offset:13440
	s_waitcnt lgkmcnt(0)
	v_fmac_f32_e32 v11, v10, v12
.LBB2_227:
	s_or_b64 exec, exec, s[0:1]
	ds_bpermute_b32 v12, v4, v11
	s_waitcnt lgkmcnt(0)
	v_add_f32_e32 v11, v11, v12
	ds_bpermute_b32 v12, v5, v11
	s_waitcnt lgkmcnt(0)
	v_add_f32_e32 v11, v11, v12
	ds_bpermute_b32 v12, v6, v11
	s_waitcnt lgkmcnt(0)
	v_add_f32_e32 v11, v11, v12
	ds_bpermute_b32 v12, v7, v11
	s_waitcnt lgkmcnt(0)
	v_add_f32_e32 v11, v11, v12
	ds_bpermute_b32 v12, v8, v11
	s_and_saveexec_b64 s[0:1], s[18:19]
	s_cbranch_execz .LBB2_229
; %bb.228:
	v_mov_b32_e32 v13, 0
	ds_read_b32 v13, v13 offset:13520
	s_waitcnt lgkmcnt(1)
	v_add_f32_e32 v11, v11, v12
	v_sub_f32_e32 v10, v10, v11
	s_waitcnt lgkmcnt(0)
	v_div_scale_f32 v11, s[2:3], v13, v13, v10
	v_div_scale_f32 v12, vcc, v10, v13, v10
	v_rcp_f32_e32 v14, v11
	v_fma_f32 v15, -v11, v14, 1.0
	v_fmac_f32_e32 v14, v15, v14
	v_mul_f32_e32 v15, v12, v14
	v_fma_f32 v16, -v11, v15, v12
	v_fmac_f32_e32 v15, v16, v14
	v_fma_f32 v11, -v11, v15, v12
	v_div_fmas_f32 v11, v11, v14, v15
	v_div_fixup_f32 v10, v11, v13, v10
.LBB2_229:
	s_or_b64 exec, exec, s[0:1]
	ds_read_b32 v11, v3 offset:13568
	s_waitcnt lgkmcnt(0)
	v_mul_f32_e32 v11, v9, v11
	s_and_saveexec_b64 s[0:1], s[52:53]
	s_cbranch_execz .LBB2_231
; %bb.230:
	ds_read_b32 v12, v3 offset:13696
	s_waitcnt lgkmcnt(0)
	v_fmac_f32_e32 v11, v10, v12
.LBB2_231:
	s_or_b64 exec, exec, s[0:1]
	ds_bpermute_b32 v12, v4, v11
	s_waitcnt lgkmcnt(0)
	v_add_f32_e32 v11, v11, v12
	ds_bpermute_b32 v12, v5, v11
	s_waitcnt lgkmcnt(0)
	v_add_f32_e32 v11, v11, v12
	ds_bpermute_b32 v12, v6, v11
	s_waitcnt lgkmcnt(0)
	v_add_f32_e32 v11, v11, v12
	ds_bpermute_b32 v12, v7, v11
	s_waitcnt lgkmcnt(0)
	v_add_f32_e32 v11, v11, v12
	ds_bpermute_b32 v12, v8, v11
	s_and_saveexec_b64 s[0:1], s[20:21]
	s_cbranch_execz .LBB2_233
; %bb.232:
	v_mov_b32_e32 v13, 0
	ds_read_b32 v13, v13 offset:13780
	s_waitcnt lgkmcnt(1)
	v_add_f32_e32 v11, v11, v12
	v_sub_f32_e32 v10, v10, v11
	s_waitcnt lgkmcnt(0)
	v_div_scale_f32 v11, s[2:3], v13, v13, v10
	v_div_scale_f32 v12, vcc, v10, v13, v10
	v_rcp_f32_e32 v14, v11
	v_fma_f32 v15, -v11, v14, 1.0
	v_fmac_f32_e32 v14, v15, v14
	v_mul_f32_e32 v15, v12, v14
	v_fma_f32 v16, -v11, v15, v12
	v_fmac_f32_e32 v15, v16, v14
	v_fma_f32 v11, -v11, v15, v12
	v_div_fmas_f32 v11, v11, v14, v15
	v_div_fixup_f32 v10, v11, v13, v10
.LBB2_233:
	s_or_b64 exec, exec, s[0:1]
	ds_read_b32 v11, v3 offset:13824
	s_waitcnt lgkmcnt(0)
	v_mul_f32_e32 v11, v9, v11
	s_and_saveexec_b64 s[0:1], s[54:55]
	s_cbranch_execz .LBB2_235
; %bb.234:
	ds_read_b32 v12, v3 offset:13952
	s_waitcnt lgkmcnt(0)
	v_fmac_f32_e32 v11, v10, v12
.LBB2_235:
	s_or_b64 exec, exec, s[0:1]
	ds_bpermute_b32 v12, v4, v11
	s_waitcnt lgkmcnt(0)
	v_add_f32_e32 v11, v11, v12
	ds_bpermute_b32 v12, v5, v11
	s_waitcnt lgkmcnt(0)
	v_add_f32_e32 v11, v11, v12
	ds_bpermute_b32 v12, v6, v11
	s_waitcnt lgkmcnt(0)
	v_add_f32_e32 v11, v11, v12
	ds_bpermute_b32 v12, v7, v11
	s_waitcnt lgkmcnt(0)
	v_add_f32_e32 v11, v11, v12
	ds_bpermute_b32 v12, v8, v11
	s_and_saveexec_b64 s[0:1], s[22:23]
	s_cbranch_execz .LBB2_237
; %bb.236:
	v_mov_b32_e32 v13, 0
	ds_read_b32 v13, v13 offset:14040
	s_waitcnt lgkmcnt(1)
	v_add_f32_e32 v11, v11, v12
	v_sub_f32_e32 v10, v10, v11
	s_waitcnt lgkmcnt(0)
	v_div_scale_f32 v11, s[2:3], v13, v13, v10
	v_div_scale_f32 v12, vcc, v10, v13, v10
	v_rcp_f32_e32 v14, v11
	v_fma_f32 v15, -v11, v14, 1.0
	v_fmac_f32_e32 v14, v15, v14
	v_mul_f32_e32 v15, v12, v14
	v_fma_f32 v16, -v11, v15, v12
	v_fmac_f32_e32 v15, v16, v14
	v_fma_f32 v11, -v11, v15, v12
	v_div_fmas_f32 v11, v11, v14, v15
	v_div_fixup_f32 v10, v11, v13, v10
.LBB2_237:
	s_or_b64 exec, exec, s[0:1]
	ds_read_b32 v11, v3 offset:14080
	s_waitcnt lgkmcnt(0)
	v_mul_f32_e32 v11, v9, v11
	s_and_saveexec_b64 s[0:1], s[56:57]
	s_cbranch_execz .LBB2_239
; %bb.238:
	ds_read_b32 v12, v3 offset:14208
	s_waitcnt lgkmcnt(0)
	v_fmac_f32_e32 v11, v10, v12
.LBB2_239:
	s_or_b64 exec, exec, s[0:1]
	ds_bpermute_b32 v12, v4, v11
	s_waitcnt lgkmcnt(0)
	v_add_f32_e32 v11, v11, v12
	ds_bpermute_b32 v12, v5, v11
	s_waitcnt lgkmcnt(0)
	v_add_f32_e32 v11, v11, v12
	ds_bpermute_b32 v12, v6, v11
	s_waitcnt lgkmcnt(0)
	v_add_f32_e32 v11, v11, v12
	ds_bpermute_b32 v12, v7, v11
	s_waitcnt lgkmcnt(0)
	v_add_f32_e32 v11, v11, v12
	ds_bpermute_b32 v12, v8, v11
	s_and_saveexec_b64 s[0:1], s[24:25]
	s_cbranch_execz .LBB2_241
; %bb.240:
	v_mov_b32_e32 v13, 0
	ds_read_b32 v13, v13 offset:14300
	s_waitcnt lgkmcnt(1)
	v_add_f32_e32 v11, v11, v12
	v_sub_f32_e32 v10, v10, v11
	s_waitcnt lgkmcnt(0)
	v_div_scale_f32 v11, s[2:3], v13, v13, v10
	v_div_scale_f32 v12, vcc, v10, v13, v10
	v_rcp_f32_e32 v14, v11
	v_fma_f32 v15, -v11, v14, 1.0
	v_fmac_f32_e32 v14, v15, v14
	v_mul_f32_e32 v15, v12, v14
	v_fma_f32 v16, -v11, v15, v12
	v_fmac_f32_e32 v15, v16, v14
	v_fma_f32 v11, -v11, v15, v12
	v_div_fmas_f32 v11, v11, v14, v15
	v_div_fixup_f32 v10, v11, v13, v10
.LBB2_241:
	s_or_b64 exec, exec, s[0:1]
	ds_read_b32 v11, v3 offset:14336
	s_waitcnt lgkmcnt(0)
	v_mul_f32_e32 v11, v9, v11
	s_and_saveexec_b64 s[0:1], s[58:59]
	s_cbranch_execz .LBB2_243
; %bb.242:
	ds_read_b32 v12, v3 offset:14464
	s_waitcnt lgkmcnt(0)
	v_fmac_f32_e32 v11, v10, v12
.LBB2_243:
	s_or_b64 exec, exec, s[0:1]
	ds_bpermute_b32 v12, v4, v11
	s_waitcnt lgkmcnt(0)
	v_add_f32_e32 v11, v11, v12
	ds_bpermute_b32 v12, v5, v11
	s_waitcnt lgkmcnt(0)
	v_add_f32_e32 v11, v11, v12
	ds_bpermute_b32 v12, v6, v11
	s_waitcnt lgkmcnt(0)
	v_add_f32_e32 v11, v11, v12
	ds_bpermute_b32 v12, v7, v11
	s_waitcnt lgkmcnt(0)
	v_add_f32_e32 v11, v11, v12
	ds_bpermute_b32 v12, v8, v11
	s_and_saveexec_b64 s[0:1], s[26:27]
	s_cbranch_execz .LBB2_245
; %bb.244:
	v_mov_b32_e32 v13, 0
	ds_read_b32 v13, v13 offset:14560
	s_waitcnt lgkmcnt(1)
	v_add_f32_e32 v11, v11, v12
	v_sub_f32_e32 v10, v10, v11
	s_waitcnt lgkmcnt(0)
	v_div_scale_f32 v11, s[2:3], v13, v13, v10
	v_div_scale_f32 v12, vcc, v10, v13, v10
	v_rcp_f32_e32 v14, v11
	v_fma_f32 v15, -v11, v14, 1.0
	v_fmac_f32_e32 v14, v15, v14
	v_mul_f32_e32 v15, v12, v14
	v_fma_f32 v16, -v11, v15, v12
	v_fmac_f32_e32 v15, v16, v14
	v_fma_f32 v11, -v11, v15, v12
	v_div_fmas_f32 v11, v11, v14, v15
	v_div_fixup_f32 v10, v11, v13, v10
.LBB2_245:
	s_or_b64 exec, exec, s[0:1]
	ds_read_b32 v11, v3 offset:14592
	s_waitcnt lgkmcnt(0)
	v_mul_f32_e32 v11, v9, v11
	s_and_saveexec_b64 s[0:1], s[60:61]
	s_cbranch_execz .LBB2_247
; %bb.246:
	ds_read_b32 v12, v3 offset:14720
	s_waitcnt lgkmcnt(0)
	v_fmac_f32_e32 v11, v10, v12
.LBB2_247:
	s_or_b64 exec, exec, s[0:1]
	ds_bpermute_b32 v12, v4, v11
	s_waitcnt lgkmcnt(0)
	v_add_f32_e32 v11, v11, v12
	ds_bpermute_b32 v12, v5, v11
	s_waitcnt lgkmcnt(0)
	v_add_f32_e32 v11, v11, v12
	ds_bpermute_b32 v12, v6, v11
	s_waitcnt lgkmcnt(0)
	v_add_f32_e32 v11, v11, v12
	ds_bpermute_b32 v12, v7, v11
	s_waitcnt lgkmcnt(0)
	v_add_f32_e32 v11, v11, v12
	ds_bpermute_b32 v12, v8, v11
	s_and_saveexec_b64 s[0:1], s[28:29]
	s_cbranch_execz .LBB2_249
; %bb.248:
	v_mov_b32_e32 v13, 0
	ds_read_b32 v13, v13 offset:14820
	s_waitcnt lgkmcnt(1)
	v_add_f32_e32 v11, v11, v12
	v_sub_f32_e32 v10, v10, v11
	s_waitcnt lgkmcnt(0)
	v_div_scale_f32 v11, s[2:3], v13, v13, v10
	v_div_scale_f32 v12, vcc, v10, v13, v10
	v_rcp_f32_e32 v14, v11
	v_fma_f32 v15, -v11, v14, 1.0
	v_fmac_f32_e32 v14, v15, v14
	v_mul_f32_e32 v15, v12, v14
	v_fma_f32 v16, -v11, v15, v12
	v_fmac_f32_e32 v15, v16, v14
	v_fma_f32 v11, -v11, v15, v12
	v_div_fmas_f32 v11, v11, v14, v15
	v_div_fixup_f32 v10, v11, v13, v10
.LBB2_249:
	s_or_b64 exec, exec, s[0:1]
	ds_read_b32 v11, v3 offset:14848
	s_waitcnt lgkmcnt(0)
	v_mul_f32_e32 v11, v9, v11
	s_and_saveexec_b64 s[0:1], s[62:63]
	s_cbranch_execz .LBB2_251
; %bb.250:
	ds_read_b32 v12, v3 offset:14976
	s_waitcnt lgkmcnt(0)
	v_fmac_f32_e32 v11, v10, v12
.LBB2_251:
	s_or_b64 exec, exec, s[0:1]
	ds_bpermute_b32 v12, v4, v11
	s_waitcnt lgkmcnt(0)
	v_add_f32_e32 v11, v11, v12
	ds_bpermute_b32 v12, v5, v11
	s_waitcnt lgkmcnt(0)
	v_add_f32_e32 v11, v11, v12
	ds_bpermute_b32 v12, v6, v11
	s_waitcnt lgkmcnt(0)
	v_add_f32_e32 v11, v11, v12
	ds_bpermute_b32 v12, v7, v11
	s_waitcnt lgkmcnt(0)
	v_add_f32_e32 v11, v11, v12
	ds_bpermute_b32 v12, v8, v11
	s_and_saveexec_b64 s[0:1], s[30:31]
	s_cbranch_execz .LBB2_253
; %bb.252:
	v_mov_b32_e32 v13, 0
	ds_read_b32 v13, v13 offset:15080
	s_waitcnt lgkmcnt(1)
	v_add_f32_e32 v11, v11, v12
	v_sub_f32_e32 v10, v10, v11
	s_waitcnt lgkmcnt(0)
	v_div_scale_f32 v11, s[2:3], v13, v13, v10
	v_div_scale_f32 v12, vcc, v10, v13, v10
	v_rcp_f32_e32 v14, v11
	v_fma_f32 v15, -v11, v14, 1.0
	v_fmac_f32_e32 v14, v15, v14
	v_mul_f32_e32 v15, v12, v14
	v_fma_f32 v16, -v11, v15, v12
	v_fmac_f32_e32 v15, v16, v14
	v_fma_f32 v11, -v11, v15, v12
	v_div_fmas_f32 v11, v11, v14, v15
	v_div_fixup_f32 v10, v11, v13, v10
.LBB2_253:
	s_or_b64 exec, exec, s[0:1]
	ds_read_b32 v11, v3 offset:15104
	s_waitcnt lgkmcnt(0)
	v_mul_f32_e32 v11, v9, v11
	s_and_saveexec_b64 s[0:1], s[64:65]
	s_cbranch_execz .LBB2_255
; %bb.254:
	ds_read_b32 v12, v3 offset:15232
	s_waitcnt lgkmcnt(0)
	v_fmac_f32_e32 v11, v10, v12
.LBB2_255:
	s_or_b64 exec, exec, s[0:1]
	ds_bpermute_b32 v12, v4, v11
	s_waitcnt lgkmcnt(0)
	v_add_f32_e32 v11, v11, v12
	ds_bpermute_b32 v12, v5, v11
	s_waitcnt lgkmcnt(0)
	v_add_f32_e32 v11, v11, v12
	ds_bpermute_b32 v12, v6, v11
	s_waitcnt lgkmcnt(0)
	v_add_f32_e32 v11, v11, v12
	ds_bpermute_b32 v12, v7, v11
	s_waitcnt lgkmcnt(0)
	v_add_f32_e32 v11, v11, v12
	ds_bpermute_b32 v12, v8, v11
	s_and_saveexec_b64 s[0:1], s[34:35]
	s_cbranch_execz .LBB2_257
; %bb.256:
	v_mov_b32_e32 v13, 0
	ds_read_b32 v13, v13 offset:15340
	s_waitcnt lgkmcnt(1)
	v_add_f32_e32 v11, v11, v12
	v_sub_f32_e32 v10, v10, v11
	s_waitcnt lgkmcnt(0)
	v_div_scale_f32 v11, s[2:3], v13, v13, v10
	v_div_scale_f32 v12, vcc, v10, v13, v10
	v_rcp_f32_e32 v14, v11
	v_fma_f32 v15, -v11, v14, 1.0
	v_fmac_f32_e32 v14, v15, v14
	v_mul_f32_e32 v15, v12, v14
	v_fma_f32 v16, -v11, v15, v12
	v_fmac_f32_e32 v15, v16, v14
	v_fma_f32 v11, -v11, v15, v12
	v_div_fmas_f32 v11, v11, v14, v15
	v_div_fixup_f32 v10, v11, v13, v10
.LBB2_257:
	s_or_b64 exec, exec, s[0:1]
	ds_read_b32 v11, v3 offset:15360
	s_waitcnt lgkmcnt(0)
	v_mul_f32_e32 v11, v9, v11
	s_and_saveexec_b64 s[0:1], s[66:67]
	s_cbranch_execz .LBB2_259
; %bb.258:
	ds_read_b32 v12, v3 offset:15488
	s_waitcnt lgkmcnt(0)
	v_fmac_f32_e32 v11, v10, v12
.LBB2_259:
	s_or_b64 exec, exec, s[0:1]
	ds_bpermute_b32 v12, v4, v11
	s_waitcnt lgkmcnt(0)
	v_add_f32_e32 v11, v11, v12
	ds_bpermute_b32 v12, v5, v11
	s_waitcnt lgkmcnt(0)
	v_add_f32_e32 v11, v11, v12
	ds_bpermute_b32 v12, v6, v11
	s_waitcnt lgkmcnt(0)
	v_add_f32_e32 v11, v11, v12
	ds_bpermute_b32 v12, v7, v11
	s_waitcnt lgkmcnt(0)
	v_add_f32_e32 v11, v11, v12
	ds_bpermute_b32 v12, v8, v11
	s_and_saveexec_b64 s[0:1], s[36:37]
	s_cbranch_execz .LBB2_261
; %bb.260:
	v_mov_b32_e32 v13, 0
	ds_read_b32 v13, v13 offset:15600
	s_waitcnt lgkmcnt(1)
	v_add_f32_e32 v11, v11, v12
	v_sub_f32_e32 v10, v10, v11
	s_waitcnt lgkmcnt(0)
	v_div_scale_f32 v11, s[2:3], v13, v13, v10
	v_div_scale_f32 v12, vcc, v10, v13, v10
	v_rcp_f32_e32 v14, v11
	v_fma_f32 v15, -v11, v14, 1.0
	v_fmac_f32_e32 v14, v15, v14
	v_mul_f32_e32 v15, v12, v14
	v_fma_f32 v16, -v11, v15, v12
	v_fmac_f32_e32 v15, v16, v14
	v_fma_f32 v11, -v11, v15, v12
	v_div_fmas_f32 v11, v11, v14, v15
	v_div_fixup_f32 v10, v11, v13, v10
.LBB2_261:
	s_or_b64 exec, exec, s[0:1]
	ds_read_b32 v11, v3 offset:15616
	s_waitcnt lgkmcnt(0)
	v_mul_f32_e32 v11, v9, v11
	s_and_saveexec_b64 s[0:1], s[68:69]
	s_cbranch_execz .LBB2_263
; %bb.262:
	ds_read_b32 v12, v3 offset:15744
	s_waitcnt lgkmcnt(0)
	v_fmac_f32_e32 v11, v10, v12
.LBB2_263:
	s_or_b64 exec, exec, s[0:1]
	ds_bpermute_b32 v12, v4, v11
	s_waitcnt lgkmcnt(0)
	v_add_f32_e32 v11, v11, v12
	ds_bpermute_b32 v12, v5, v11
	s_waitcnt lgkmcnt(0)
	v_add_f32_e32 v11, v11, v12
	ds_bpermute_b32 v12, v6, v11
	s_waitcnt lgkmcnt(0)
	v_add_f32_e32 v11, v11, v12
	ds_bpermute_b32 v12, v7, v11
	s_waitcnt lgkmcnt(0)
	v_add_f32_e32 v11, v11, v12
	ds_bpermute_b32 v12, v8, v11
	s_and_saveexec_b64 s[0:1], s[38:39]
	s_cbranch_execz .LBB2_265
; %bb.264:
	v_mov_b32_e32 v13, 0
	ds_read_b32 v13, v13 offset:15860
	s_waitcnt lgkmcnt(1)
	v_add_f32_e32 v11, v11, v12
	v_sub_f32_e32 v10, v10, v11
	s_waitcnt lgkmcnt(0)
	v_div_scale_f32 v11, s[2:3], v13, v13, v10
	v_div_scale_f32 v12, vcc, v10, v13, v10
	v_rcp_f32_e32 v14, v11
	v_fma_f32 v15, -v11, v14, 1.0
	v_fmac_f32_e32 v14, v15, v14
	v_mul_f32_e32 v15, v12, v14
	v_fma_f32 v16, -v11, v15, v12
	v_fmac_f32_e32 v15, v16, v14
	v_fma_f32 v11, -v11, v15, v12
	v_div_fmas_f32 v11, v11, v14, v15
	v_div_fixup_f32 v10, v11, v13, v10
.LBB2_265:
	s_or_b64 exec, exec, s[0:1]
	ds_read_b32 v11, v3 offset:15872
	s_waitcnt lgkmcnt(0)
	v_mul_f32_e32 v11, v9, v11
	s_and_saveexec_b64 s[0:1], s[70:71]
	s_cbranch_execz .LBB2_267
; %bb.266:
	ds_read_b32 v12, v3 offset:16000
	s_waitcnt lgkmcnt(0)
	v_fmac_f32_e32 v11, v10, v12
.LBB2_267:
	s_or_b64 exec, exec, s[0:1]
	ds_bpermute_b32 v12, v4, v11
	s_waitcnt lgkmcnt(0)
	v_add_f32_e32 v11, v11, v12
	ds_bpermute_b32 v12, v5, v11
	s_waitcnt lgkmcnt(0)
	v_add_f32_e32 v11, v11, v12
	;; [unrolled: 3-line block ×4, first 2 shown]
	ds_bpermute_b32 v12, v8, v11
	s_and_saveexec_b64 s[0:1], s[40:41]
	s_cbranch_execz .LBB2_269
; %bb.268:
	v_mov_b32_e32 v13, 0
	ds_read_b32 v13, v13 offset:16120
	s_waitcnt lgkmcnt(1)
	v_add_f32_e32 v11, v11, v12
	v_sub_f32_e32 v10, v10, v11
	s_waitcnt lgkmcnt(0)
	v_div_scale_f32 v11, s[2:3], v13, v13, v10
	v_div_scale_f32 v12, vcc, v10, v13, v10
	v_rcp_f32_e32 v14, v11
	v_fma_f32 v15, -v11, v14, 1.0
	v_fmac_f32_e32 v14, v15, v14
	v_mul_f32_e32 v15, v12, v14
	v_fma_f32 v16, -v11, v15, v12
	v_fmac_f32_e32 v15, v16, v14
	v_fma_f32 v11, -v11, v15, v12
	v_div_fmas_f32 v11, v11, v14, v15
	v_div_fixup_f32 v10, v11, v13, v10
.LBB2_269:
	s_or_b64 exec, exec, s[0:1]
	ds_read_b32 v11, v3 offset:16128
	s_load_dwordx2 s[0:1], s[4:5], 0x10
	s_waitcnt lgkmcnt(0)
	v_mul_f32_e32 v11, v9, v11
	s_mov_b64 s[2:3], exec
	v_readlane_b32 s4, v17, 40
	v_readlane_b32 s5, v17, 41
	s_and_b64 s[4:5], s[2:3], s[4:5]
	s_mov_b64 exec, s[4:5]
	s_cbranch_execz .LBB2_271
; %bb.270:
	ds_read_b32 v3, v3 offset:16256
	s_waitcnt lgkmcnt(0)
	v_fmac_f32_e32 v11, v10, v3
.LBB2_271:
	s_or_b64 exec, exec, s[2:3]
	ds_bpermute_b32 v3, v4, v11
	s_waitcnt lgkmcnt(0)
	v_add_f32_e32 v3, v11, v3
	ds_bpermute_b32 v4, v5, v3
	s_waitcnt lgkmcnt(0)
	v_add_f32_e32 v3, v3, v4
	;; [unrolled: 3-line block ×4, first 2 shown]
	ds_bpermute_b32 v4, v8, v3
	s_mov_b64 s[2:3], exec
	v_readlane_b32 s4, v17, 42
	v_readlane_b32 s5, v17, 43
	s_and_b64 s[4:5], s[2:3], s[4:5]
	s_mov_b64 exec, s[4:5]
	s_cbranch_execz .LBB2_273
; %bb.272:
	v_mov_b32_e32 v5, 0
	ds_read_b32 v5, v5 offset:16380
	s_waitcnt lgkmcnt(1)
	v_add_f32_e32 v3, v3, v4
	v_sub_f32_e32 v3, v10, v3
	s_waitcnt lgkmcnt(0)
	v_div_scale_f32 v4, s[4:5], v5, v5, v3
	v_div_scale_f32 v6, vcc, v3, v5, v3
	v_rcp_f32_e32 v7, v4
	v_fma_f32 v8, -v4, v7, 1.0
	v_fmac_f32_e32 v7, v8, v7
	v_mul_f32_e32 v8, v6, v7
	v_fma_f32 v10, -v4, v8, v6
	v_fmac_f32_e32 v8, v10, v7
	v_fma_f32 v4, -v4, v8, v6
	v_div_fmas_f32 v4, v4, v7, v8
	v_div_fixup_f32 v10, v4, v5, v3
.LBB2_273:
	s_or_b64 exec, exec, s[2:3]
	s_mul_i32 s2, s45, s48
	s_mul_hi_u32 s3, s44, s48
	s_add_i32 s3, s3, s2
	s_mul_i32 s2, s44, s48
	s_mul_i32 s4, s47, s33
	s_mul_hi_u32 s5, s46, s33
	s_add_i32 s5, s5, s4
	s_lshl_b64 s[2:3], s[2:3], 2
	s_mul_i32 s4, s46, s33
	s_add_u32 s2, s0, s2
	s_addc_u32 s3, s1, s3
	s_lshl_b64 s[0:1], s[4:5], 2
	s_add_u32 s0, s2, s0
	s_addc_u32 s1, s3, s1
	s_mov_b64 s[2:3], exec
	v_readlane_b32 s4, v17, 0
	v_readlane_b32 s5, v17, 1
	s_and_b64 s[4:5], s[2:3], s[4:5]
	s_mov_b64 exec, s[4:5]
	s_cbranch_execz .LBB2_275
; %bb.274:
	v_readlane_b32 s4, v17, 2
	v_readlane_b32 s5, v17, 3
	v_lshl_or_b32 v0, v0, 6, v1
	v_cndmask_b32_e64 v3, v10, v9, s[4:5]
	global_store_dword v0, v3, s[0:1]
.LBB2_275:
	s_or_b64 exec, exec, s[2:3]
	v_readlane_b32 s2, v17, 2
	v_readlane_b32 s3, v17, 3
	s_and_b64 exec, exec, s[2:3]
	s_cbranch_execz .LBB2_277
; %bb.276:
	v_lshl_or_b32 v0, v2, 6, v1
	global_store_dword v0, v10, s[0:1]
.LBB2_277:
	s_endpgm
	.section	.rodata,"a",@progbits
	.p2align	6, 0x0
	.amdhsa_kernel _ZL18solve_tri_f32_fastILi64ELi16EEvPKfS1_Pf15HIP_vector_typeIjLj3EEmmmmmmii
		.amdhsa_group_segment_fixed_size 16384
		.amdhsa_private_segment_fixed_size 0
		.amdhsa_kernarg_size 352
		.amdhsa_user_sgpr_count 6
		.amdhsa_user_sgpr_private_segment_buffer 1
		.amdhsa_user_sgpr_dispatch_ptr 0
		.amdhsa_user_sgpr_queue_ptr 0
		.amdhsa_user_sgpr_kernarg_segment_ptr 1
		.amdhsa_user_sgpr_dispatch_id 0
		.amdhsa_user_sgpr_flat_scratch_init 0
		.amdhsa_user_sgpr_private_segment_size 0
		.amdhsa_uses_dynamic_stack 0
		.amdhsa_system_sgpr_private_segment_wavefront_offset 0
		.amdhsa_system_sgpr_workgroup_id_x 1
		.amdhsa_system_sgpr_workgroup_id_y 0
		.amdhsa_system_sgpr_workgroup_id_z 0
		.amdhsa_system_sgpr_workgroup_info 0
		.amdhsa_system_vgpr_workitem_id 1
		.amdhsa_next_free_vgpr 29
		.amdhsa_next_free_sgpr 96
		.amdhsa_reserve_vcc 1
		.amdhsa_reserve_flat_scratch 0
		.amdhsa_float_round_mode_32 0
		.amdhsa_float_round_mode_16_64 0
		.amdhsa_float_denorm_mode_32 3
		.amdhsa_float_denorm_mode_16_64 3
		.amdhsa_dx10_clamp 1
		.amdhsa_ieee_mode 1
		.amdhsa_fp16_overflow 0
		.amdhsa_exception_fp_ieee_invalid_op 0
		.amdhsa_exception_fp_denorm_src 0
		.amdhsa_exception_fp_ieee_div_zero 0
		.amdhsa_exception_fp_ieee_overflow 0
		.amdhsa_exception_fp_ieee_underflow 0
		.amdhsa_exception_fp_ieee_inexact 0
		.amdhsa_exception_int_div_zero 0
	.end_amdhsa_kernel
	.section	.text._ZL18solve_tri_f32_fastILi64ELi16EEvPKfS1_Pf15HIP_vector_typeIjLj3EEmmmmmmii,"axG",@progbits,_ZL18solve_tri_f32_fastILi64ELi16EEvPKfS1_Pf15HIP_vector_typeIjLj3EEmmmmmmii,comdat
.Lfunc_end2:
	.size	_ZL18solve_tri_f32_fastILi64ELi16EEvPKfS1_Pf15HIP_vector_typeIjLj3EEmmmmmmii, .Lfunc_end2-_ZL18solve_tri_f32_fastILi64ELi16EEvPKfS1_Pf15HIP_vector_typeIjLj3EEmmmmmmii
                                        ; -- End function
	.set _ZL18solve_tri_f32_fastILi64ELi16EEvPKfS1_Pf15HIP_vector_typeIjLj3EEmmmmmmii.num_vgpr, 18
	.set _ZL18solve_tri_f32_fastILi64ELi16EEvPKfS1_Pf15HIP_vector_typeIjLj3EEmmmmmmii.num_agpr, 0
	.set _ZL18solve_tri_f32_fastILi64ELi16EEvPKfS1_Pf15HIP_vector_typeIjLj3EEmmmmmmii.numbered_sgpr, 96
	.set _ZL18solve_tri_f32_fastILi64ELi16EEvPKfS1_Pf15HIP_vector_typeIjLj3EEmmmmmmii.num_named_barrier, 0
	.set _ZL18solve_tri_f32_fastILi64ELi16EEvPKfS1_Pf15HIP_vector_typeIjLj3EEmmmmmmii.private_seg_size, 0
	.set _ZL18solve_tri_f32_fastILi64ELi16EEvPKfS1_Pf15HIP_vector_typeIjLj3EEmmmmmmii.uses_vcc, 1
	.set _ZL18solve_tri_f32_fastILi64ELi16EEvPKfS1_Pf15HIP_vector_typeIjLj3EEmmmmmmii.uses_flat_scratch, 0
	.set _ZL18solve_tri_f32_fastILi64ELi16EEvPKfS1_Pf15HIP_vector_typeIjLj3EEmmmmmmii.has_dyn_sized_stack, 0
	.set _ZL18solve_tri_f32_fastILi64ELi16EEvPKfS1_Pf15HIP_vector_typeIjLj3EEmmmmmmii.has_recursion, 0
	.set _ZL18solve_tri_f32_fastILi64ELi16EEvPKfS1_Pf15HIP_vector_typeIjLj3EEmmmmmmii.has_indirect_call, 0
	.section	.AMDGPU.csdata,"",@progbits
; Kernel info:
; codeLenInByte = 16908
; TotalNumSgprs: 100
; NumVgprs: 18
; ScratchSize: 0
; MemoryBound: 0
; FloatMode: 240
; IeeeMode: 1
; LDSByteSize: 16384 bytes/workgroup (compile time only)
; SGPRBlocks: 12
; VGPRBlocks: 7
; NumSGPRsForWavesPerEU: 100
; NumVGPRsForWavesPerEU: 29
; Occupancy: 8
; WaveLimiterHint : 0
; COMPUTE_PGM_RSRC2:SCRATCH_EN: 0
; COMPUTE_PGM_RSRC2:USER_SGPR: 6
; COMPUTE_PGM_RSRC2:TRAP_HANDLER: 0
; COMPUTE_PGM_RSRC2:TGID_X_EN: 1
; COMPUTE_PGM_RSRC2:TGID_Y_EN: 0
; COMPUTE_PGM_RSRC2:TGID_Z_EN: 0
; COMPUTE_PGM_RSRC2:TIDIG_COMP_CNT: 1
	.section	.text._ZL18solve_tri_f32_fastILi64ELi14EEvPKfS1_Pf15HIP_vector_typeIjLj3EEmmmmmmii,"axG",@progbits,_ZL18solve_tri_f32_fastILi64ELi14EEvPKfS1_Pf15HIP_vector_typeIjLj3EEmmmmmmii,comdat
	.globl	_ZL18solve_tri_f32_fastILi64ELi14EEvPKfS1_Pf15HIP_vector_typeIjLj3EEmmmmmmii ; -- Begin function _ZL18solve_tri_f32_fastILi64ELi14EEvPKfS1_Pf15HIP_vector_typeIjLj3EEmmmmmmii
	.p2align	8
	.type	_ZL18solve_tri_f32_fastILi64ELi14EEvPKfS1_Pf15HIP_vector_typeIjLj3EEmmmmmmii,@function
_ZL18solve_tri_f32_fastILi64ELi14EEvPKfS1_Pf15HIP_vector_typeIjLj3EEmmmmmmii: ; @_ZL18solve_tri_f32_fastILi64ELi14EEvPKfS1_Pf15HIP_vector_typeIjLj3EEmmmmmmii
; %bb.0:
	v_cmp_gt_u32_e32 vcc, 14, v1
	s_and_saveexec_b64 s[0:1], vcc
	s_cbranch_execz .LBB3_281
; %bb.1:
	s_load_dwordx4 s[0:3], s[4:5], 0x18
	s_load_dwordx2 s[16:17], s[4:5], 0x0
	s_load_dwordx8 s[8:15], s[4:5], 0x28
	s_waitcnt lgkmcnt(0)
	s_mul_hi_u32 s0, s0, s6
	s_add_i32 s0, s6, s0
	s_lshr_b32 s33, s0, s1
	s_mul_i32 s0, s33, s2
	s_sub_i32 s48, s6, s0
	s_mul_i32 s1, s9, s48
	s_mul_hi_u32 s2, s8, s48
	s_mul_i32 s0, s8, s48
	s_add_i32 s1, s2, s1
	s_lshl_b64 s[0:1], s[0:1], 2
	s_add_u32 s2, s16, s0
	s_load_dword s6, s[4:5], 0x6c
	s_addc_u32 s3, s17, s1
	s_mul_i32 s0, s11, s33
	s_mul_hi_u32 s1, s10, s33
	s_add_i32 s1, s1, s0
	s_mul_i32 s0, s10, s33
	s_lshl_b64 s[0:1], s[0:1], 2
	s_add_u32 s0, s2, s0
	s_addc_u32 s1, s3, s1
	s_waitcnt lgkmcnt(0)
	s_and_b32 s2, s6, 0xffff
	v_mad_u32_u24 v3, v1, s2, v0
	s_movk_i32 s2, 0x1000
	v_cmp_gt_u32_e32 vcc, s2, v3
	v_lshlrev_b32_e32 v2, 2, v3
	s_and_saveexec_b64 s[2:3], vcc
	s_cbranch_execz .LBB3_3
; %bb.2:
	global_load_dword v4, v2, s[0:1]
	s_waitcnt vmcnt(0)
	ds_write_b32 v2, v4
.LBB3_3:
	s_or_b64 exec, exec, s[2:3]
	s_movk_i32 s2, 0xe40
	v_cmp_gt_u32_e32 vcc, s2, v3
	s_and_saveexec_b64 s[2:3], vcc
	s_cbranch_execz .LBB3_5
; %bb.4:
	global_load_dword v4, v2, s[0:1] offset:1792
	s_waitcnt vmcnt(0)
	ds_write_b32 v2, v4 offset:1792
.LBB3_5:
	s_or_b64 exec, exec, s[2:3]
	s_movk_i32 s2, 0xc80
	v_cmp_gt_u32_e32 vcc, s2, v3
	s_and_saveexec_b64 s[2:3], vcc
	s_cbranch_execz .LBB3_7
; %bb.6:
	global_load_dword v4, v2, s[0:1] offset:3584
	s_waitcnt vmcnt(0)
	ds_write_b32 v2, v4 offset:3584
.LBB3_7:
	s_or_b64 exec, exec, s[2:3]
	s_movk_i32 s2, 0xac0
	v_cmp_gt_u32_e32 vcc, s2, v3
	s_and_saveexec_b64 s[2:3], vcc
	s_cbranch_execz .LBB3_9
; %bb.8:
	v_add_u32_e32 v4, 0x1500, v2
	global_load_dword v4, v4, s[0:1]
	s_waitcnt vmcnt(0)
	ds_write_b32 v2, v4 offset:5376
.LBB3_9:
	s_or_b64 exec, exec, s[2:3]
	s_movk_i32 s2, 0x900
	v_cmp_gt_u32_e32 vcc, s2, v3
	s_and_saveexec_b64 s[2:3], vcc
	s_cbranch_execz .LBB3_11
; %bb.10:
	v_add_u32_e32 v4, 0x1c00, v2
	global_load_dword v4, v4, s[0:1]
	s_waitcnt vmcnt(0)
	ds_write_b32 v2, v4 offset:7168
.LBB3_11:
	;; [unrolled: 11-line block ×4, first 2 shown]
	s_or_b64 exec, exec, s[2:3]
	s_load_dwordx4 s[44:47], s[4:5], 0x48
	s_movk_i32 s2, 0x3c0
	v_cmp_gt_u32_e32 vcc, s2, v3
	s_and_saveexec_b64 s[2:3], vcc
	s_cbranch_execz .LBB3_17
; %bb.16:
	v_add_u32_e32 v4, 0x3100, v2
	global_load_dword v4, v4, s[0:1]
	s_waitcnt vmcnt(0)
	ds_write_b32 v2, v4 offset:12544
.LBB3_17:
	s_or_b64 exec, exec, s[2:3]
	s_load_dwordx2 s[2:3], s[4:5], 0x8
	s_movk_i32 s6, 0x200
	v_cmp_gt_u32_e32 vcc, s6, v3
	s_and_saveexec_b64 s[6:7], vcc
	s_cbranch_execz .LBB3_19
; %bb.18:
	v_or_b32_e32 v4, 0x3800, v2
	global_load_dword v4, v4, s[0:1]
	s_waitcnt vmcnt(0)
	ds_write_b32 v2, v4 offset:14336
.LBB3_19:
	s_or_b64 exec, exec, s[6:7]
	v_cmp_gt_u32_e32 vcc, 64, v3
	s_and_saveexec_b64 s[6:7], vcc
	s_cbranch_execz .LBB3_21
; %bb.20:
	v_or_b32_e32 v3, 0x3f00, v2
	global_load_dword v3, v3, s[0:1]
	s_waitcnt vmcnt(0)
	ds_write_b32 v2, v3 offset:16128
.LBB3_21:
	s_or_b64 exec, exec, s[6:7]
	s_mul_i32 s0, s13, s48
	s_mul_hi_u32 s1, s12, s48
	s_add_i32 s1, s1, s0
	s_mul_i32 s0, s12, s48
	s_mul_i32 s6, s15, s33
	s_mul_hi_u32 s7, s14, s33
	s_add_i32 s7, s7, s6
	s_lshl_b64 s[0:1], s[0:1], 2
	s_mul_i32 s6, s14, s33
	s_waitcnt lgkmcnt(0)
	s_add_u32 s2, s2, s0
	s_addc_u32 s3, s3, s1
	s_lshl_b64 s[0:1], s[6:7], 2
	s_add_u32 s0, s2, s0
	s_addc_u32 s1, s3, s1
	v_mov_b32_e32 v11, 0
	v_mul_u32_u24_e32 v2, 14, v0
	v_mov_b32_e32 v10, 0
	s_barrier
	v_cmp_gt_u32_e64 s[6:7], 64, v0
	s_mov_b64 s[2:3], exec
                                        ; implicit-def: $vgpr18 : SGPR spill to VGPR lane
	v_writelane_b32 v18, s6, 0
	v_writelane_b32 v18, s7, 1
	s_and_b64 s[6:7], s[2:3], s[6:7]
	s_mov_b64 exec, s[6:7]
	s_cbranch_execz .LBB3_23
; %bb.22:
	v_add_lshl_u32 v3, v2, v1, 2
	global_load_dword v10, v3, s[0:1]
.LBB3_23:
	s_or_b64 exec, exec, s[2:3]
	v_add_u32_e32 v3, 32, v0
	v_mul_u32_u24_e32 v3, 14, v3
	v_cmp_gt_u32_e64 s[6:7], 32, v0
	s_mov_b64 s[2:3], exec
	v_writelane_b32 v18, s6, 2
	v_writelane_b32 v18, s7, 3
	s_and_b64 s[6:7], s[2:3], s[6:7]
	s_mov_b64 exec, s[6:7]
	s_cbranch_execz .LBB3_25
; %bb.24:
	v_add_lshl_u32 v4, v3, v1, 2
	global_load_dword v11, v4, s[0:1]
.LBB3_25:
	s_or_b64 exec, exec, s[2:3]
	v_cmp_eq_u32_e64 s[6:7], 0, v0
	s_and_saveexec_b64 s[0:1], s[6:7]
	s_cbranch_execz .LBB3_27
; %bb.26:
	v_mov_b32_e32 v4, 0
	ds_read_b32 v4, v4
	s_waitcnt vmcnt(0) lgkmcnt(0)
	v_div_scale_f32 v5, s[2:3], v4, v4, v10
	v_div_scale_f32 v6, vcc, v10, v4, v10
	v_rcp_f32_e32 v7, v5
	v_fma_f32 v8, -v5, v7, 1.0
	v_fmac_f32_e32 v7, v8, v7
	v_mul_f32_e32 v8, v6, v7
	v_fma_f32 v9, -v5, v8, v6
	v_fmac_f32_e32 v8, v9, v7
	v_fma_f32 v5, -v5, v8, v6
	v_div_fmas_f32 v5, v5, v7, v8
	v_div_fixup_f32 v10, v5, v4, v10
.LBB3_27:
	s_or_b64 exec, exec, s[0:1]
	v_lshlrev_b32_e32 v4, 2, v0
	v_mov_b32_e32 v7, 0
	s_and_saveexec_b64 s[0:1], s[6:7]
	s_cbranch_execz .LBB3_29
; %bb.28:
	ds_read_b32 v5, v4 offset:256
	s_waitcnt vmcnt(0) lgkmcnt(0)
	v_fma_f32 v7, v10, v5, 0
.LBB3_29:
	s_or_b64 exec, exec, s[0:1]
	v_mbcnt_lo_u32_b32 v5, -1, 0
	v_mbcnt_hi_u32_b32 v9, -1, v5
	v_and_b32_e32 v5, 0x60, v9
	v_add_u32_e32 v12, 32, v5
	v_xor_b32_e32 v5, 16, v9
	v_cmp_lt_i32_e32 vcc, v5, v12
	v_cndmask_b32_e32 v5, v9, v5, vcc
	v_lshlrev_b32_e32 v5, 2, v5
	ds_bpermute_b32 v8, v5, v7
	v_xor_b32_e32 v6, 8, v9
	v_cmp_lt_i32_e32 vcc, v6, v12
	v_cndmask_b32_e32 v6, v9, v6, vcc
	v_lshlrev_b32_e32 v6, 2, v6
	s_waitcnt lgkmcnt(0)
	v_add_f32_e32 v8, v7, v8
	ds_bpermute_b32 v13, v6, v8
	v_xor_b32_e32 v7, 4, v9
	v_cmp_lt_i32_e32 vcc, v7, v12
	v_cndmask_b32_e32 v7, v9, v7, vcc
	v_lshlrev_b32_e32 v7, 2, v7
	s_waitcnt lgkmcnt(0)
	v_add_f32_e32 v13, v8, v13
	;; [unrolled: 7-line block ×4, first 2 shown]
	ds_bpermute_b32 v13, v9, v12
	v_cmp_eq_u32_e64 s[72:73], 1, v0
	s_and_saveexec_b64 s[0:1], s[72:73]
	s_cbranch_execz .LBB3_31
; %bb.30:
	v_mov_b32_e32 v14, 0
	ds_read_b32 v14, v14 offset:260
	s_waitcnt lgkmcnt(1)
	v_add_f32_e32 v12, v12, v13
	s_waitcnt vmcnt(0)
	v_sub_f32_e32 v10, v10, v12
	s_waitcnt lgkmcnt(0)
	v_div_scale_f32 v12, s[2:3], v14, v14, v10
	v_div_scale_f32 v13, vcc, v10, v14, v10
	v_rcp_f32_e32 v15, v12
	v_fma_f32 v16, -v12, v15, 1.0
	v_fmac_f32_e32 v15, v16, v15
	v_mul_f32_e32 v16, v13, v15
	v_fma_f32 v17, -v12, v16, v13
	v_fmac_f32_e32 v16, v17, v15
	v_fma_f32 v12, -v12, v16, v13
	v_div_fmas_f32 v12, v12, v15, v16
	v_div_fixup_f32 v10, v12, v14, v10
.LBB3_31:
	s_or_b64 exec, exec, s[0:1]
	v_mov_b32_e32 v12, 0
	v_cmp_gt_u32_e64 s[2:3], 2, v0
	s_mov_b64 s[0:1], exec
	v_writelane_b32 v18, s2, 4
	v_writelane_b32 v18, s3, 5
	s_and_b64 s[2:3], s[0:1], s[2:3]
	s_mov_b64 exec, s[2:3]
	s_cbranch_execz .LBB3_33
; %bb.32:
	ds_read_b32 v12, v4 offset:512
	s_waitcnt vmcnt(0) lgkmcnt(0)
	v_fma_f32 v12, v10, v12, 0
.LBB3_33:
	s_or_b64 exec, exec, s[0:1]
	s_waitcnt lgkmcnt(0)
	ds_bpermute_b32 v13, v5, v12
	v_cmp_eq_u32_e64 s[74:75], 2, v0
	s_waitcnt lgkmcnt(0)
	v_add_f32_e32 v12, v12, v13
	ds_bpermute_b32 v13, v6, v12
	s_waitcnt lgkmcnt(0)
	v_add_f32_e32 v12, v12, v13
	ds_bpermute_b32 v13, v7, v12
	s_waitcnt lgkmcnt(0)
	v_add_f32_e32 v12, v12, v13
	ds_bpermute_b32 v13, v8, v12
	s_waitcnt lgkmcnt(0)
	v_add_f32_e32 v12, v12, v13
	ds_bpermute_b32 v13, v9, v12
	s_and_saveexec_b64 s[0:1], s[74:75]
	s_cbranch_execz .LBB3_35
; %bb.34:
	v_mov_b32_e32 v14, 0
	ds_read_b32 v14, v14 offset:520
	s_waitcnt lgkmcnt(1)
	v_add_f32_e32 v12, v12, v13
	s_waitcnt vmcnt(0)
	v_sub_f32_e32 v10, v10, v12
	s_waitcnt lgkmcnt(0)
	v_div_scale_f32 v12, s[2:3], v14, v14, v10
	v_div_scale_f32 v13, vcc, v10, v14, v10
	v_rcp_f32_e32 v15, v12
	v_fma_f32 v16, -v12, v15, 1.0
	v_fmac_f32_e32 v15, v16, v15
	v_mul_f32_e32 v16, v13, v15
	v_fma_f32 v17, -v12, v16, v13
	v_fmac_f32_e32 v16, v17, v15
	v_fma_f32 v12, -v12, v16, v13
	v_div_fmas_f32 v12, v12, v15, v16
	v_div_fixup_f32 v10, v12, v14, v10
.LBB3_35:
	s_or_b64 exec, exec, s[0:1]
	v_mov_b32_e32 v12, 0
	v_cmp_gt_u32_e64 s[2:3], 3, v0
	s_mov_b64 s[0:1], exec
	v_writelane_b32 v18, s2, 6
	v_writelane_b32 v18, s3, 7
	s_and_b64 s[2:3], s[0:1], s[2:3]
	s_mov_b64 exec, s[2:3]
	s_cbranch_execz .LBB3_37
; %bb.36:
	ds_read_b32 v12, v4 offset:768
	s_waitcnt vmcnt(0) lgkmcnt(0)
	v_fma_f32 v12, v10, v12, 0
.LBB3_37:
	s_or_b64 exec, exec, s[0:1]
	s_waitcnt lgkmcnt(0)
	ds_bpermute_b32 v13, v5, v12
	v_cmp_eq_u32_e64 s[76:77], 3, v0
	s_waitcnt lgkmcnt(0)
	v_add_f32_e32 v12, v12, v13
	ds_bpermute_b32 v13, v6, v12
	s_waitcnt lgkmcnt(0)
	v_add_f32_e32 v12, v12, v13
	ds_bpermute_b32 v13, v7, v12
	s_waitcnt lgkmcnt(0)
	v_add_f32_e32 v12, v12, v13
	ds_bpermute_b32 v13, v8, v12
	s_waitcnt lgkmcnt(0)
	v_add_f32_e32 v12, v12, v13
	ds_bpermute_b32 v13, v9, v12
	s_and_saveexec_b64 s[0:1], s[76:77]
	s_cbranch_execz .LBB3_39
; %bb.38:
	v_mov_b32_e32 v14, 0
	ds_read_b32 v14, v14 offset:780
	s_waitcnt lgkmcnt(1)
	v_add_f32_e32 v12, v12, v13
	s_waitcnt vmcnt(0)
	v_sub_f32_e32 v10, v10, v12
	s_waitcnt lgkmcnt(0)
	v_div_scale_f32 v12, s[2:3], v14, v14, v10
	v_div_scale_f32 v13, vcc, v10, v14, v10
	v_rcp_f32_e32 v15, v12
	v_fma_f32 v16, -v12, v15, 1.0
	v_fmac_f32_e32 v15, v16, v15
	v_mul_f32_e32 v16, v13, v15
	v_fma_f32 v17, -v12, v16, v13
	v_fmac_f32_e32 v16, v17, v15
	v_fma_f32 v12, -v12, v16, v13
	v_div_fmas_f32 v12, v12, v15, v16
	v_div_fixup_f32 v10, v12, v14, v10
.LBB3_39:
	s_or_b64 exec, exec, s[0:1]
	v_mov_b32_e32 v12, 0
	v_cmp_gt_u32_e64 s[2:3], 4, v0
	s_mov_b64 s[0:1], exec
	v_writelane_b32 v18, s2, 8
	v_writelane_b32 v18, s3, 9
	s_and_b64 s[2:3], s[0:1], s[2:3]
	s_mov_b64 exec, s[2:3]
	s_cbranch_execz .LBB3_41
; %bb.40:
	ds_read_b32 v12, v4 offset:1024
	s_waitcnt vmcnt(0) lgkmcnt(0)
	v_fma_f32 v12, v10, v12, 0
.LBB3_41:
	s_or_b64 exec, exec, s[0:1]
	s_waitcnt lgkmcnt(0)
	ds_bpermute_b32 v13, v5, v12
	v_cmp_eq_u32_e64 s[78:79], 4, v0
	s_waitcnt lgkmcnt(0)
	v_add_f32_e32 v12, v12, v13
	ds_bpermute_b32 v13, v6, v12
	s_waitcnt lgkmcnt(0)
	v_add_f32_e32 v12, v12, v13
	ds_bpermute_b32 v13, v7, v12
	s_waitcnt lgkmcnt(0)
	v_add_f32_e32 v12, v12, v13
	ds_bpermute_b32 v13, v8, v12
	s_waitcnt lgkmcnt(0)
	v_add_f32_e32 v12, v12, v13
	ds_bpermute_b32 v13, v9, v12
	s_and_saveexec_b64 s[0:1], s[78:79]
	s_cbranch_execz .LBB3_43
; %bb.42:
	v_mov_b32_e32 v14, 0
	ds_read_b32 v14, v14 offset:1040
	s_waitcnt lgkmcnt(1)
	v_add_f32_e32 v12, v12, v13
	s_waitcnt vmcnt(0)
	v_sub_f32_e32 v10, v10, v12
	s_waitcnt lgkmcnt(0)
	v_div_scale_f32 v12, s[2:3], v14, v14, v10
	v_div_scale_f32 v13, vcc, v10, v14, v10
	v_rcp_f32_e32 v15, v12
	v_fma_f32 v16, -v12, v15, 1.0
	v_fmac_f32_e32 v15, v16, v15
	v_mul_f32_e32 v16, v13, v15
	v_fma_f32 v17, -v12, v16, v13
	v_fmac_f32_e32 v16, v17, v15
	v_fma_f32 v12, -v12, v16, v13
	v_div_fmas_f32 v12, v12, v15, v16
	v_div_fixup_f32 v10, v12, v14, v10
.LBB3_43:
	s_or_b64 exec, exec, s[0:1]
	v_mov_b32_e32 v12, 0
	v_cmp_gt_u32_e64 s[2:3], 5, v0
	s_mov_b64 s[0:1], exec
	v_writelane_b32 v18, s2, 10
	v_writelane_b32 v18, s3, 11
	s_and_b64 s[2:3], s[0:1], s[2:3]
	s_mov_b64 exec, s[2:3]
	s_cbranch_execz .LBB3_45
; %bb.44:
	ds_read_b32 v12, v4 offset:1280
	s_waitcnt vmcnt(0) lgkmcnt(0)
	v_fma_f32 v12, v10, v12, 0
.LBB3_45:
	s_or_b64 exec, exec, s[0:1]
	s_waitcnt lgkmcnt(0)
	ds_bpermute_b32 v13, v5, v12
	v_cmp_eq_u32_e64 s[80:81], 5, v0
	s_waitcnt lgkmcnt(0)
	v_add_f32_e32 v12, v12, v13
	ds_bpermute_b32 v13, v6, v12
	s_waitcnt lgkmcnt(0)
	v_add_f32_e32 v12, v12, v13
	ds_bpermute_b32 v13, v7, v12
	s_waitcnt lgkmcnt(0)
	v_add_f32_e32 v12, v12, v13
	ds_bpermute_b32 v13, v8, v12
	s_waitcnt lgkmcnt(0)
	v_add_f32_e32 v12, v12, v13
	ds_bpermute_b32 v13, v9, v12
	s_and_saveexec_b64 s[0:1], s[80:81]
	s_cbranch_execz .LBB3_47
; %bb.46:
	v_mov_b32_e32 v14, 0
	ds_read_b32 v14, v14 offset:1300
	s_waitcnt lgkmcnt(1)
	v_add_f32_e32 v12, v12, v13
	s_waitcnt vmcnt(0)
	v_sub_f32_e32 v10, v10, v12
	s_waitcnt lgkmcnt(0)
	v_div_scale_f32 v12, s[2:3], v14, v14, v10
	v_div_scale_f32 v13, vcc, v10, v14, v10
	v_rcp_f32_e32 v15, v12
	v_fma_f32 v16, -v12, v15, 1.0
	v_fmac_f32_e32 v15, v16, v15
	v_mul_f32_e32 v16, v13, v15
	v_fma_f32 v17, -v12, v16, v13
	v_fmac_f32_e32 v16, v17, v15
	v_fma_f32 v12, -v12, v16, v13
	v_div_fmas_f32 v12, v12, v15, v16
	v_div_fixup_f32 v10, v12, v14, v10
.LBB3_47:
	s_or_b64 exec, exec, s[0:1]
	v_mov_b32_e32 v12, 0
	v_cmp_gt_u32_e64 s[2:3], 6, v0
	s_mov_b64 s[0:1], exec
	v_writelane_b32 v18, s2, 12
	v_writelane_b32 v18, s3, 13
	s_and_b64 s[2:3], s[0:1], s[2:3]
	s_mov_b64 exec, s[2:3]
	s_cbranch_execz .LBB3_49
; %bb.48:
	ds_read_b32 v12, v4 offset:1536
	s_waitcnt vmcnt(0) lgkmcnt(0)
	v_fma_f32 v12, v10, v12, 0
.LBB3_49:
	s_or_b64 exec, exec, s[0:1]
	s_waitcnt lgkmcnt(0)
	ds_bpermute_b32 v13, v5, v12
	v_cmp_eq_u32_e64 s[82:83], 6, v0
	s_waitcnt lgkmcnt(0)
	v_add_f32_e32 v12, v12, v13
	ds_bpermute_b32 v13, v6, v12
	s_waitcnt lgkmcnt(0)
	v_add_f32_e32 v12, v12, v13
	ds_bpermute_b32 v13, v7, v12
	s_waitcnt lgkmcnt(0)
	v_add_f32_e32 v12, v12, v13
	ds_bpermute_b32 v13, v8, v12
	s_waitcnt lgkmcnt(0)
	v_add_f32_e32 v12, v12, v13
	ds_bpermute_b32 v13, v9, v12
	s_and_saveexec_b64 s[0:1], s[82:83]
	s_cbranch_execz .LBB3_51
; %bb.50:
	v_mov_b32_e32 v14, 0
	ds_read_b32 v14, v14 offset:1560
	s_waitcnt lgkmcnt(1)
	v_add_f32_e32 v12, v12, v13
	s_waitcnt vmcnt(0)
	v_sub_f32_e32 v10, v10, v12
	s_waitcnt lgkmcnt(0)
	v_div_scale_f32 v12, s[2:3], v14, v14, v10
	v_div_scale_f32 v13, vcc, v10, v14, v10
	v_rcp_f32_e32 v15, v12
	v_fma_f32 v16, -v12, v15, 1.0
	v_fmac_f32_e32 v15, v16, v15
	v_mul_f32_e32 v16, v13, v15
	v_fma_f32 v17, -v12, v16, v13
	v_fmac_f32_e32 v16, v17, v15
	v_fma_f32 v12, -v12, v16, v13
	v_div_fmas_f32 v12, v12, v15, v16
	v_div_fixup_f32 v10, v12, v14, v10
.LBB3_51:
	s_or_b64 exec, exec, s[0:1]
	v_mov_b32_e32 v12, 0
	v_cmp_gt_u32_e64 s[2:3], 7, v0
	s_mov_b64 s[0:1], exec
	v_writelane_b32 v18, s2, 14
	v_writelane_b32 v18, s3, 15
	s_and_b64 s[2:3], s[0:1], s[2:3]
	s_mov_b64 exec, s[2:3]
	s_cbranch_execz .LBB3_53
; %bb.52:
	ds_read_b32 v12, v4 offset:1792
	s_waitcnt vmcnt(0) lgkmcnt(0)
	v_fma_f32 v12, v10, v12, 0
.LBB3_53:
	s_or_b64 exec, exec, s[0:1]
	s_waitcnt lgkmcnt(0)
	ds_bpermute_b32 v13, v5, v12
	v_cmp_eq_u32_e64 s[84:85], 7, v0
	s_waitcnt lgkmcnt(0)
	v_add_f32_e32 v12, v12, v13
	ds_bpermute_b32 v13, v6, v12
	s_waitcnt lgkmcnt(0)
	v_add_f32_e32 v12, v12, v13
	ds_bpermute_b32 v13, v7, v12
	s_waitcnt lgkmcnt(0)
	v_add_f32_e32 v12, v12, v13
	ds_bpermute_b32 v13, v8, v12
	s_waitcnt lgkmcnt(0)
	v_add_f32_e32 v12, v12, v13
	ds_bpermute_b32 v13, v9, v12
	s_and_saveexec_b64 s[0:1], s[84:85]
	s_cbranch_execz .LBB3_55
; %bb.54:
	v_mov_b32_e32 v14, 0
	ds_read_b32 v14, v14 offset:1820
	s_waitcnt lgkmcnt(1)
	v_add_f32_e32 v12, v12, v13
	s_waitcnt vmcnt(0)
	v_sub_f32_e32 v10, v10, v12
	s_waitcnt lgkmcnt(0)
	v_div_scale_f32 v12, s[2:3], v14, v14, v10
	v_div_scale_f32 v13, vcc, v10, v14, v10
	v_rcp_f32_e32 v15, v12
	v_fma_f32 v16, -v12, v15, 1.0
	v_fmac_f32_e32 v15, v16, v15
	v_mul_f32_e32 v16, v13, v15
	v_fma_f32 v17, -v12, v16, v13
	v_fmac_f32_e32 v16, v17, v15
	v_fma_f32 v12, -v12, v16, v13
	v_div_fmas_f32 v12, v12, v15, v16
	v_div_fixup_f32 v10, v12, v14, v10
.LBB3_55:
	s_or_b64 exec, exec, s[0:1]
	v_mov_b32_e32 v12, 0
	v_cmp_gt_u32_e64 s[2:3], 8, v0
	s_mov_b64 s[0:1], exec
	v_writelane_b32 v18, s2, 16
	v_writelane_b32 v18, s3, 17
	s_and_b64 s[2:3], s[0:1], s[2:3]
	s_mov_b64 exec, s[2:3]
	s_cbranch_execz .LBB3_57
; %bb.56:
	ds_read_b32 v12, v4 offset:2048
	s_waitcnt vmcnt(0) lgkmcnt(0)
	v_fma_f32 v12, v10, v12, 0
.LBB3_57:
	s_or_b64 exec, exec, s[0:1]
	s_waitcnt lgkmcnt(0)
	ds_bpermute_b32 v13, v5, v12
	v_cmp_eq_u32_e64 s[86:87], 8, v0
	s_waitcnt lgkmcnt(0)
	v_add_f32_e32 v12, v12, v13
	ds_bpermute_b32 v13, v6, v12
	s_waitcnt lgkmcnt(0)
	v_add_f32_e32 v12, v12, v13
	ds_bpermute_b32 v13, v7, v12
	s_waitcnt lgkmcnt(0)
	v_add_f32_e32 v12, v12, v13
	ds_bpermute_b32 v13, v8, v12
	s_waitcnt lgkmcnt(0)
	v_add_f32_e32 v12, v12, v13
	ds_bpermute_b32 v13, v9, v12
	s_and_saveexec_b64 s[0:1], s[86:87]
	s_cbranch_execz .LBB3_59
; %bb.58:
	v_mov_b32_e32 v14, 0
	ds_read_b32 v14, v14 offset:2080
	s_waitcnt lgkmcnt(1)
	v_add_f32_e32 v12, v12, v13
	s_waitcnt vmcnt(0)
	v_sub_f32_e32 v10, v10, v12
	s_waitcnt lgkmcnt(0)
	v_div_scale_f32 v12, s[2:3], v14, v14, v10
	v_div_scale_f32 v13, vcc, v10, v14, v10
	v_rcp_f32_e32 v15, v12
	v_fma_f32 v16, -v12, v15, 1.0
	v_fmac_f32_e32 v15, v16, v15
	v_mul_f32_e32 v16, v13, v15
	v_fma_f32 v17, -v12, v16, v13
	v_fmac_f32_e32 v16, v17, v15
	v_fma_f32 v12, -v12, v16, v13
	v_div_fmas_f32 v12, v12, v15, v16
	v_div_fixup_f32 v10, v12, v14, v10
.LBB3_59:
	s_or_b64 exec, exec, s[0:1]
	v_mov_b32_e32 v12, 0
	v_cmp_gt_u32_e64 s[2:3], 9, v0
	s_mov_b64 s[0:1], exec
	v_writelane_b32 v18, s2, 18
	v_writelane_b32 v18, s3, 19
	s_and_b64 s[2:3], s[0:1], s[2:3]
	s_mov_b64 exec, s[2:3]
	s_cbranch_execz .LBB3_61
; %bb.60:
	ds_read_b32 v12, v4 offset:2304
	s_waitcnt vmcnt(0) lgkmcnt(0)
	v_fma_f32 v12, v10, v12, 0
.LBB3_61:
	s_or_b64 exec, exec, s[0:1]
	s_waitcnt lgkmcnt(0)
	ds_bpermute_b32 v13, v5, v12
	v_cmp_eq_u32_e64 s[88:89], 9, v0
	s_waitcnt lgkmcnt(0)
	v_add_f32_e32 v12, v12, v13
	ds_bpermute_b32 v13, v6, v12
	s_waitcnt lgkmcnt(0)
	v_add_f32_e32 v12, v12, v13
	ds_bpermute_b32 v13, v7, v12
	s_waitcnt lgkmcnt(0)
	v_add_f32_e32 v12, v12, v13
	ds_bpermute_b32 v13, v8, v12
	s_waitcnt lgkmcnt(0)
	v_add_f32_e32 v12, v12, v13
	ds_bpermute_b32 v13, v9, v12
	s_and_saveexec_b64 s[0:1], s[88:89]
	s_cbranch_execz .LBB3_63
; %bb.62:
	v_mov_b32_e32 v14, 0
	ds_read_b32 v14, v14 offset:2340
	s_waitcnt lgkmcnt(1)
	v_add_f32_e32 v12, v12, v13
	s_waitcnt vmcnt(0)
	v_sub_f32_e32 v10, v10, v12
	s_waitcnt lgkmcnt(0)
	v_div_scale_f32 v12, s[2:3], v14, v14, v10
	v_div_scale_f32 v13, vcc, v10, v14, v10
	v_rcp_f32_e32 v15, v12
	v_fma_f32 v16, -v12, v15, 1.0
	v_fmac_f32_e32 v15, v16, v15
	v_mul_f32_e32 v16, v13, v15
	v_fma_f32 v17, -v12, v16, v13
	v_fmac_f32_e32 v16, v17, v15
	v_fma_f32 v12, -v12, v16, v13
	v_div_fmas_f32 v12, v12, v15, v16
	v_div_fixup_f32 v10, v12, v14, v10
.LBB3_63:
	s_or_b64 exec, exec, s[0:1]
	v_mov_b32_e32 v12, 0
	v_cmp_gt_u32_e64 s[2:3], 10, v0
	s_mov_b64 s[0:1], exec
	v_writelane_b32 v18, s2, 20
	v_writelane_b32 v18, s3, 21
	s_and_b64 s[2:3], s[0:1], s[2:3]
	s_mov_b64 exec, s[2:3]
	s_cbranch_execz .LBB3_65
; %bb.64:
	ds_read_b32 v12, v4 offset:2560
	s_waitcnt vmcnt(0) lgkmcnt(0)
	v_fma_f32 v12, v10, v12, 0
.LBB3_65:
	s_or_b64 exec, exec, s[0:1]
	s_waitcnt lgkmcnt(0)
	ds_bpermute_b32 v13, v5, v12
	v_cmp_eq_u32_e64 s[90:91], 10, v0
	s_waitcnt lgkmcnt(0)
	v_add_f32_e32 v12, v12, v13
	ds_bpermute_b32 v13, v6, v12
	s_waitcnt lgkmcnt(0)
	v_add_f32_e32 v12, v12, v13
	ds_bpermute_b32 v13, v7, v12
	s_waitcnt lgkmcnt(0)
	v_add_f32_e32 v12, v12, v13
	ds_bpermute_b32 v13, v8, v12
	s_waitcnt lgkmcnt(0)
	v_add_f32_e32 v12, v12, v13
	ds_bpermute_b32 v13, v9, v12
	s_and_saveexec_b64 s[0:1], s[90:91]
	s_cbranch_execz .LBB3_67
; %bb.66:
	v_mov_b32_e32 v14, 0
	ds_read_b32 v14, v14 offset:2600
	s_waitcnt lgkmcnt(1)
	v_add_f32_e32 v12, v12, v13
	s_waitcnt vmcnt(0)
	v_sub_f32_e32 v10, v10, v12
	s_waitcnt lgkmcnt(0)
	v_div_scale_f32 v12, s[2:3], v14, v14, v10
	v_div_scale_f32 v13, vcc, v10, v14, v10
	v_rcp_f32_e32 v15, v12
	v_fma_f32 v16, -v12, v15, 1.0
	v_fmac_f32_e32 v15, v16, v15
	v_mul_f32_e32 v16, v13, v15
	v_fma_f32 v17, -v12, v16, v13
	v_fmac_f32_e32 v16, v17, v15
	v_fma_f32 v12, -v12, v16, v13
	v_div_fmas_f32 v12, v12, v15, v16
	v_div_fixup_f32 v10, v12, v14, v10
.LBB3_67:
	s_or_b64 exec, exec, s[0:1]
	v_mov_b32_e32 v12, 0
	v_cmp_gt_u32_e64 s[2:3], 11, v0
	s_mov_b64 s[0:1], exec
	v_writelane_b32 v18, s2, 22
	v_writelane_b32 v18, s3, 23
	s_and_b64 s[2:3], s[0:1], s[2:3]
	s_mov_b64 exec, s[2:3]
	s_cbranch_execz .LBB3_69
; %bb.68:
	ds_read_b32 v12, v4 offset:2816
	s_waitcnt vmcnt(0) lgkmcnt(0)
	v_fma_f32 v12, v10, v12, 0
.LBB3_69:
	s_or_b64 exec, exec, s[0:1]
	s_waitcnt lgkmcnt(0)
	ds_bpermute_b32 v13, v5, v12
	v_cmp_eq_u32_e64 s[92:93], 11, v0
	s_waitcnt lgkmcnt(0)
	v_add_f32_e32 v12, v12, v13
	ds_bpermute_b32 v13, v6, v12
	s_waitcnt lgkmcnt(0)
	v_add_f32_e32 v12, v12, v13
	ds_bpermute_b32 v13, v7, v12
	s_waitcnt lgkmcnt(0)
	v_add_f32_e32 v12, v12, v13
	ds_bpermute_b32 v13, v8, v12
	s_waitcnt lgkmcnt(0)
	v_add_f32_e32 v12, v12, v13
	ds_bpermute_b32 v13, v9, v12
	s_and_saveexec_b64 s[0:1], s[92:93]
	s_cbranch_execz .LBB3_71
; %bb.70:
	v_mov_b32_e32 v14, 0
	ds_read_b32 v14, v14 offset:2860
	s_waitcnt lgkmcnt(1)
	v_add_f32_e32 v12, v12, v13
	s_waitcnt vmcnt(0)
	v_sub_f32_e32 v10, v10, v12
	s_waitcnt lgkmcnt(0)
	v_div_scale_f32 v12, s[2:3], v14, v14, v10
	v_div_scale_f32 v13, vcc, v10, v14, v10
	v_rcp_f32_e32 v15, v12
	v_fma_f32 v16, -v12, v15, 1.0
	v_fmac_f32_e32 v15, v16, v15
	v_mul_f32_e32 v16, v13, v15
	v_fma_f32 v17, -v12, v16, v13
	v_fmac_f32_e32 v16, v17, v15
	v_fma_f32 v12, -v12, v16, v13
	v_div_fmas_f32 v12, v12, v15, v16
	v_div_fixup_f32 v10, v12, v14, v10
.LBB3_71:
	s_or_b64 exec, exec, s[0:1]
	v_mov_b32_e32 v12, 0
	v_cmp_gt_u32_e64 s[2:3], 12, v0
	s_mov_b64 s[0:1], exec
	v_writelane_b32 v18, s2, 24
	v_writelane_b32 v18, s3, 25
	s_and_b64 s[2:3], s[0:1], s[2:3]
	s_mov_b64 exec, s[2:3]
	s_cbranch_execz .LBB3_73
; %bb.72:
	ds_read_b32 v12, v4 offset:3072
	s_waitcnt vmcnt(0) lgkmcnt(0)
	v_fma_f32 v12, v10, v12, 0
.LBB3_73:
	s_or_b64 exec, exec, s[0:1]
	s_waitcnt lgkmcnt(0)
	ds_bpermute_b32 v13, v5, v12
	v_cmp_eq_u32_e64 s[94:95], 12, v0
	s_waitcnt lgkmcnt(0)
	v_add_f32_e32 v12, v12, v13
	ds_bpermute_b32 v13, v6, v12
	s_waitcnt lgkmcnt(0)
	v_add_f32_e32 v12, v12, v13
	ds_bpermute_b32 v13, v7, v12
	s_waitcnt lgkmcnt(0)
	v_add_f32_e32 v12, v12, v13
	ds_bpermute_b32 v13, v8, v12
	s_waitcnt lgkmcnt(0)
	v_add_f32_e32 v12, v12, v13
	ds_bpermute_b32 v13, v9, v12
	s_and_saveexec_b64 s[0:1], s[94:95]
	s_cbranch_execz .LBB3_75
; %bb.74:
	v_mov_b32_e32 v14, 0
	ds_read_b32 v14, v14 offset:3120
	s_waitcnt lgkmcnt(1)
	v_add_f32_e32 v12, v12, v13
	s_waitcnt vmcnt(0)
	v_sub_f32_e32 v10, v10, v12
	s_waitcnt lgkmcnt(0)
	v_div_scale_f32 v12, s[2:3], v14, v14, v10
	v_div_scale_f32 v13, vcc, v10, v14, v10
	v_rcp_f32_e32 v15, v12
	v_fma_f32 v16, -v12, v15, 1.0
	v_fmac_f32_e32 v15, v16, v15
	v_mul_f32_e32 v16, v13, v15
	v_fma_f32 v17, -v12, v16, v13
	v_fmac_f32_e32 v16, v17, v15
	v_fma_f32 v12, -v12, v16, v13
	v_div_fmas_f32 v12, v12, v15, v16
	v_div_fixup_f32 v10, v12, v14, v10
.LBB3_75:
	s_or_b64 exec, exec, s[0:1]
	v_mov_b32_e32 v12, 0
	v_cmp_gt_u32_e64 s[2:3], 13, v0
	s_mov_b64 s[0:1], exec
	v_writelane_b32 v18, s2, 26
	v_writelane_b32 v18, s3, 27
	s_and_b64 s[2:3], s[0:1], s[2:3]
	s_mov_b64 exec, s[2:3]
	s_cbranch_execz .LBB3_77
; %bb.76:
	ds_read_b32 v12, v4 offset:3328
	s_waitcnt vmcnt(0) lgkmcnt(0)
	v_fma_f32 v12, v10, v12, 0
.LBB3_77:
	s_or_b64 exec, exec, s[0:1]
	s_waitcnt lgkmcnt(0)
	ds_bpermute_b32 v13, v5, v12
	v_cmp_eq_u32_e64 s[0:1], 13, v0
	s_waitcnt lgkmcnt(0)
	v_add_f32_e32 v12, v12, v13
	ds_bpermute_b32 v13, v6, v12
	s_waitcnt lgkmcnt(0)
	v_add_f32_e32 v12, v12, v13
	ds_bpermute_b32 v13, v7, v12
	s_waitcnt lgkmcnt(0)
	v_add_f32_e32 v12, v12, v13
	ds_bpermute_b32 v13, v8, v12
	s_waitcnt lgkmcnt(0)
	v_add_f32_e32 v12, v12, v13
	ds_bpermute_b32 v13, v9, v12
	s_and_saveexec_b64 s[2:3], s[0:1]
	s_cbranch_execz .LBB3_79
; %bb.78:
	v_mov_b32_e32 v14, 0
	ds_read_b32 v14, v14 offset:3380
	s_waitcnt lgkmcnt(1)
	v_add_f32_e32 v12, v12, v13
	s_waitcnt vmcnt(0)
	v_sub_f32_e32 v10, v10, v12
	s_waitcnt lgkmcnt(0)
	v_div_scale_f32 v12, s[8:9], v14, v14, v10
	v_div_scale_f32 v13, vcc, v10, v14, v10
	v_rcp_f32_e32 v15, v12
	v_fma_f32 v16, -v12, v15, 1.0
	v_fmac_f32_e32 v15, v16, v15
	v_mul_f32_e32 v16, v13, v15
	v_fma_f32 v17, -v12, v16, v13
	v_fmac_f32_e32 v16, v17, v15
	v_fma_f32 v12, -v12, v16, v13
	v_div_fmas_f32 v12, v12, v15, v16
	v_div_fixup_f32 v10, v12, v14, v10
.LBB3_79:
	s_or_b64 exec, exec, s[2:3]
	v_mov_b32_e32 v12, 0
	v_cmp_gt_u32_e64 s[8:9], 14, v0
	s_mov_b64 s[2:3], exec
	v_writelane_b32 v18, s8, 28
	v_writelane_b32 v18, s9, 29
	s_and_b64 s[8:9], s[2:3], s[8:9]
	s_mov_b64 exec, s[8:9]
	s_cbranch_execz .LBB3_81
; %bb.80:
	ds_read_b32 v12, v4 offset:3584
	s_waitcnt vmcnt(0) lgkmcnt(0)
	v_fma_f32 v12, v10, v12, 0
.LBB3_81:
	s_or_b64 exec, exec, s[2:3]
	s_waitcnt lgkmcnt(0)
	ds_bpermute_b32 v13, v5, v12
	v_cmp_eq_u32_e64 s[2:3], 14, v0
	s_waitcnt lgkmcnt(0)
	v_add_f32_e32 v12, v12, v13
	ds_bpermute_b32 v13, v6, v12
	s_waitcnt lgkmcnt(0)
	v_add_f32_e32 v12, v12, v13
	ds_bpermute_b32 v13, v7, v12
	s_waitcnt lgkmcnt(0)
	v_add_f32_e32 v12, v12, v13
	ds_bpermute_b32 v13, v8, v12
	s_waitcnt lgkmcnt(0)
	v_add_f32_e32 v12, v12, v13
	ds_bpermute_b32 v13, v9, v12
	s_and_saveexec_b64 s[8:9], s[2:3]
	s_cbranch_execz .LBB3_83
; %bb.82:
	v_mov_b32_e32 v14, 0
	ds_read_b32 v14, v14 offset:3640
	s_waitcnt lgkmcnt(1)
	v_add_f32_e32 v12, v12, v13
	s_waitcnt vmcnt(0)
	v_sub_f32_e32 v10, v10, v12
	s_waitcnt lgkmcnt(0)
	v_div_scale_f32 v12, s[10:11], v14, v14, v10
	v_div_scale_f32 v13, vcc, v10, v14, v10
	v_rcp_f32_e32 v15, v12
	v_fma_f32 v16, -v12, v15, 1.0
	v_fmac_f32_e32 v15, v16, v15
	v_mul_f32_e32 v16, v13, v15
	v_fma_f32 v17, -v12, v16, v13
	v_fmac_f32_e32 v16, v17, v15
	v_fma_f32 v12, -v12, v16, v13
	v_div_fmas_f32 v12, v12, v15, v16
	v_div_fixup_f32 v10, v12, v14, v10
.LBB3_83:
	s_or_b64 exec, exec, s[8:9]
	v_mov_b32_e32 v12, 0
	v_cmp_gt_u32_e64 s[10:11], 15, v0
	s_mov_b64 s[8:9], exec
	v_writelane_b32 v18, s10, 30
	v_writelane_b32 v18, s11, 31
	s_and_b64 s[10:11], s[8:9], s[10:11]
	s_mov_b64 exec, s[10:11]
	s_cbranch_execz .LBB3_85
; %bb.84:
	ds_read_b32 v12, v4 offset:3840
	s_waitcnt vmcnt(0) lgkmcnt(0)
	v_fma_f32 v12, v10, v12, 0
.LBB3_85:
	s_or_b64 exec, exec, s[8:9]
	s_waitcnt lgkmcnt(0)
	ds_bpermute_b32 v13, v5, v12
	v_cmp_eq_u32_e64 s[8:9], 15, v0
	s_waitcnt lgkmcnt(0)
	v_add_f32_e32 v12, v12, v13
	ds_bpermute_b32 v13, v6, v12
	s_waitcnt lgkmcnt(0)
	v_add_f32_e32 v12, v12, v13
	ds_bpermute_b32 v13, v7, v12
	s_waitcnt lgkmcnt(0)
	v_add_f32_e32 v12, v12, v13
	ds_bpermute_b32 v13, v8, v12
	s_waitcnt lgkmcnt(0)
	v_add_f32_e32 v12, v12, v13
	ds_bpermute_b32 v13, v9, v12
	s_and_saveexec_b64 s[10:11], s[8:9]
	s_cbranch_execz .LBB3_87
; %bb.86:
	v_mov_b32_e32 v14, 0
	ds_read_b32 v14, v14 offset:3900
	s_waitcnt lgkmcnt(1)
	v_add_f32_e32 v12, v12, v13
	s_waitcnt vmcnt(0)
	v_sub_f32_e32 v10, v10, v12
	s_waitcnt lgkmcnt(0)
	v_div_scale_f32 v12, s[12:13], v14, v14, v10
	v_div_scale_f32 v13, vcc, v10, v14, v10
	v_rcp_f32_e32 v15, v12
	v_fma_f32 v16, -v12, v15, 1.0
	v_fmac_f32_e32 v15, v16, v15
	v_mul_f32_e32 v16, v13, v15
	v_fma_f32 v17, -v12, v16, v13
	v_fmac_f32_e32 v16, v17, v15
	v_fma_f32 v12, -v12, v16, v13
	v_div_fmas_f32 v12, v12, v15, v16
	v_div_fixup_f32 v10, v12, v14, v10
.LBB3_87:
	s_or_b64 exec, exec, s[10:11]
	v_mov_b32_e32 v12, 0
	v_cmp_gt_u32_e64 s[12:13], 16, v0
	s_mov_b64 s[10:11], exec
	v_writelane_b32 v18, s12, 32
	v_writelane_b32 v18, s13, 33
	s_and_b64 s[12:13], s[10:11], s[12:13]
	s_mov_b64 exec, s[12:13]
	s_cbranch_execz .LBB3_89
; %bb.88:
	ds_read_b32 v12, v4 offset:4096
	s_waitcnt vmcnt(0) lgkmcnt(0)
	v_fma_f32 v12, v10, v12, 0
.LBB3_89:
	s_or_b64 exec, exec, s[10:11]
	s_waitcnt lgkmcnt(0)
	ds_bpermute_b32 v13, v5, v12
	v_cmp_eq_u32_e64 s[10:11], 16, v0
	s_waitcnt lgkmcnt(0)
	v_add_f32_e32 v12, v12, v13
	ds_bpermute_b32 v13, v6, v12
	s_waitcnt lgkmcnt(0)
	v_add_f32_e32 v12, v12, v13
	ds_bpermute_b32 v13, v7, v12
	s_waitcnt lgkmcnt(0)
	v_add_f32_e32 v12, v12, v13
	ds_bpermute_b32 v13, v8, v12
	s_waitcnt lgkmcnt(0)
	v_add_f32_e32 v12, v12, v13
	ds_bpermute_b32 v13, v9, v12
	s_and_saveexec_b64 s[12:13], s[10:11]
	s_cbranch_execz .LBB3_91
; %bb.90:
	v_mov_b32_e32 v14, 0
	ds_read_b32 v14, v14 offset:4160
	s_waitcnt lgkmcnt(1)
	v_add_f32_e32 v12, v12, v13
	s_waitcnt vmcnt(0)
	v_sub_f32_e32 v10, v10, v12
	s_waitcnt lgkmcnt(0)
	v_div_scale_f32 v12, s[14:15], v14, v14, v10
	v_div_scale_f32 v13, vcc, v10, v14, v10
	v_rcp_f32_e32 v15, v12
	v_fma_f32 v16, -v12, v15, 1.0
	v_fmac_f32_e32 v15, v16, v15
	v_mul_f32_e32 v16, v13, v15
	v_fma_f32 v17, -v12, v16, v13
	v_fmac_f32_e32 v16, v17, v15
	v_fma_f32 v12, -v12, v16, v13
	v_div_fmas_f32 v12, v12, v15, v16
	v_div_fixup_f32 v10, v12, v14, v10
.LBB3_91:
	s_or_b64 exec, exec, s[12:13]
	v_mov_b32_e32 v12, 0
	v_cmp_gt_u32_e64 s[14:15], 17, v0
	s_mov_b64 s[12:13], exec
	v_writelane_b32 v18, s14, 34
	v_writelane_b32 v18, s15, 35
	s_and_b64 s[14:15], s[12:13], s[14:15]
	s_mov_b64 exec, s[14:15]
	s_cbranch_execz .LBB3_93
; %bb.92:
	ds_read_b32 v12, v4 offset:4352
	s_waitcnt vmcnt(0) lgkmcnt(0)
	v_fma_f32 v12, v10, v12, 0
.LBB3_93:
	s_or_b64 exec, exec, s[12:13]
	s_waitcnt lgkmcnt(0)
	ds_bpermute_b32 v13, v5, v12
	v_cmp_eq_u32_e64 s[12:13], 17, v0
	s_waitcnt lgkmcnt(0)
	v_add_f32_e32 v12, v12, v13
	ds_bpermute_b32 v13, v6, v12
	s_waitcnt lgkmcnt(0)
	v_add_f32_e32 v12, v12, v13
	ds_bpermute_b32 v13, v7, v12
	s_waitcnt lgkmcnt(0)
	v_add_f32_e32 v12, v12, v13
	ds_bpermute_b32 v13, v8, v12
	s_waitcnt lgkmcnt(0)
	v_add_f32_e32 v12, v12, v13
	ds_bpermute_b32 v13, v9, v12
	s_and_saveexec_b64 s[14:15], s[12:13]
	s_cbranch_execz .LBB3_95
; %bb.94:
	v_mov_b32_e32 v14, 0
	ds_read_b32 v14, v14 offset:4420
	s_waitcnt lgkmcnt(1)
	v_add_f32_e32 v12, v12, v13
	s_waitcnt vmcnt(0)
	v_sub_f32_e32 v10, v10, v12
	s_waitcnt lgkmcnt(0)
	v_div_scale_f32 v12, s[16:17], v14, v14, v10
	v_div_scale_f32 v13, vcc, v10, v14, v10
	v_rcp_f32_e32 v15, v12
	v_fma_f32 v16, -v12, v15, 1.0
	v_fmac_f32_e32 v15, v16, v15
	v_mul_f32_e32 v16, v13, v15
	v_fma_f32 v17, -v12, v16, v13
	v_fmac_f32_e32 v16, v17, v15
	v_fma_f32 v12, -v12, v16, v13
	v_div_fmas_f32 v12, v12, v15, v16
	v_div_fixup_f32 v10, v12, v14, v10
.LBB3_95:
	s_or_b64 exec, exec, s[14:15]
	v_mov_b32_e32 v12, 0
	v_cmp_gt_u32_e64 s[16:17], 18, v0
	s_mov_b64 s[14:15], exec
	v_writelane_b32 v18, s16, 36
	v_writelane_b32 v18, s17, 37
	s_and_b64 s[16:17], s[14:15], s[16:17]
	s_mov_b64 exec, s[16:17]
	s_cbranch_execz .LBB3_97
; %bb.96:
	ds_read_b32 v12, v4 offset:4608
	s_waitcnt vmcnt(0) lgkmcnt(0)
	v_fma_f32 v12, v10, v12, 0
.LBB3_97:
	s_or_b64 exec, exec, s[14:15]
	s_waitcnt lgkmcnt(0)
	ds_bpermute_b32 v13, v5, v12
	v_cmp_eq_u32_e64 s[14:15], 18, v0
	s_waitcnt lgkmcnt(0)
	v_add_f32_e32 v12, v12, v13
	ds_bpermute_b32 v13, v6, v12
	s_waitcnt lgkmcnt(0)
	v_add_f32_e32 v12, v12, v13
	ds_bpermute_b32 v13, v7, v12
	s_waitcnt lgkmcnt(0)
	v_add_f32_e32 v12, v12, v13
	ds_bpermute_b32 v13, v8, v12
	s_waitcnt lgkmcnt(0)
	v_add_f32_e32 v12, v12, v13
	ds_bpermute_b32 v13, v9, v12
	s_and_saveexec_b64 s[16:17], s[14:15]
	s_cbranch_execz .LBB3_99
; %bb.98:
	v_mov_b32_e32 v14, 0
	ds_read_b32 v14, v14 offset:4680
	s_waitcnt lgkmcnt(1)
	v_add_f32_e32 v12, v12, v13
	s_waitcnt vmcnt(0)
	v_sub_f32_e32 v10, v10, v12
	s_waitcnt lgkmcnt(0)
	v_div_scale_f32 v12, s[18:19], v14, v14, v10
	v_div_scale_f32 v13, vcc, v10, v14, v10
	v_rcp_f32_e32 v15, v12
	v_fma_f32 v16, -v12, v15, 1.0
	v_fmac_f32_e32 v15, v16, v15
	v_mul_f32_e32 v16, v13, v15
	v_fma_f32 v17, -v12, v16, v13
	v_fmac_f32_e32 v16, v17, v15
	v_fma_f32 v12, -v12, v16, v13
	v_div_fmas_f32 v12, v12, v15, v16
	v_div_fixup_f32 v10, v12, v14, v10
.LBB3_99:
	s_or_b64 exec, exec, s[16:17]
	v_mov_b32_e32 v12, 0
	v_cmp_gt_u32_e64 s[18:19], 19, v0
	s_mov_b64 s[16:17], exec
	v_writelane_b32 v18, s18, 38
	v_writelane_b32 v18, s19, 39
	s_and_b64 s[18:19], s[16:17], s[18:19]
	s_mov_b64 exec, s[18:19]
	s_cbranch_execz .LBB3_101
; %bb.100:
	ds_read_b32 v12, v4 offset:4864
	s_waitcnt vmcnt(0) lgkmcnt(0)
	v_fma_f32 v12, v10, v12, 0
.LBB3_101:
	s_or_b64 exec, exec, s[16:17]
	s_waitcnt lgkmcnt(0)
	ds_bpermute_b32 v13, v5, v12
	v_cmp_eq_u32_e64 s[16:17], 19, v0
	s_waitcnt lgkmcnt(0)
	v_add_f32_e32 v12, v12, v13
	ds_bpermute_b32 v13, v6, v12
	s_waitcnt lgkmcnt(0)
	v_add_f32_e32 v12, v12, v13
	ds_bpermute_b32 v13, v7, v12
	s_waitcnt lgkmcnt(0)
	v_add_f32_e32 v12, v12, v13
	ds_bpermute_b32 v13, v8, v12
	s_waitcnt lgkmcnt(0)
	v_add_f32_e32 v12, v12, v13
	ds_bpermute_b32 v13, v9, v12
	s_and_saveexec_b64 s[18:19], s[16:17]
	s_cbranch_execz .LBB3_103
; %bb.102:
	v_mov_b32_e32 v14, 0
	ds_read_b32 v14, v14 offset:4940
	s_waitcnt lgkmcnt(1)
	v_add_f32_e32 v12, v12, v13
	s_waitcnt vmcnt(0)
	v_sub_f32_e32 v10, v10, v12
	s_waitcnt lgkmcnt(0)
	v_div_scale_f32 v12, s[20:21], v14, v14, v10
	v_div_scale_f32 v13, vcc, v10, v14, v10
	v_rcp_f32_e32 v15, v12
	v_fma_f32 v16, -v12, v15, 1.0
	v_fmac_f32_e32 v15, v16, v15
	v_mul_f32_e32 v16, v13, v15
	v_fma_f32 v17, -v12, v16, v13
	v_fmac_f32_e32 v16, v17, v15
	v_fma_f32 v12, -v12, v16, v13
	v_div_fmas_f32 v12, v12, v15, v16
	v_div_fixup_f32 v10, v12, v14, v10
.LBB3_103:
	s_or_b64 exec, exec, s[18:19]
	v_cmp_gt_u32_e64 s[50:51], 20, v0
	v_mov_b32_e32 v12, 0
	s_and_saveexec_b64 s[18:19], s[50:51]
	s_cbranch_execz .LBB3_105
; %bb.104:
	ds_read_b32 v12, v4 offset:5120
	s_waitcnt vmcnt(0) lgkmcnt(0)
	v_fma_f32 v12, v10, v12, 0
.LBB3_105:
	s_or_b64 exec, exec, s[18:19]
	s_waitcnt lgkmcnt(0)
	ds_bpermute_b32 v13, v5, v12
	v_cmp_eq_u32_e64 s[18:19], 20, v0
	s_waitcnt lgkmcnt(0)
	v_add_f32_e32 v12, v12, v13
	ds_bpermute_b32 v13, v6, v12
	s_waitcnt lgkmcnt(0)
	v_add_f32_e32 v12, v12, v13
	ds_bpermute_b32 v13, v7, v12
	s_waitcnt lgkmcnt(0)
	v_add_f32_e32 v12, v12, v13
	ds_bpermute_b32 v13, v8, v12
	s_waitcnt lgkmcnt(0)
	v_add_f32_e32 v12, v12, v13
	ds_bpermute_b32 v13, v9, v12
	s_and_saveexec_b64 s[20:21], s[18:19]
	s_cbranch_execz .LBB3_107
; %bb.106:
	v_mov_b32_e32 v14, 0
	ds_read_b32 v14, v14 offset:5200
	s_waitcnt lgkmcnt(1)
	v_add_f32_e32 v12, v12, v13
	s_waitcnt vmcnt(0)
	v_sub_f32_e32 v10, v10, v12
	s_waitcnt lgkmcnt(0)
	v_div_scale_f32 v12, s[22:23], v14, v14, v10
	v_div_scale_f32 v13, vcc, v10, v14, v10
	v_rcp_f32_e32 v15, v12
	v_fma_f32 v16, -v12, v15, 1.0
	v_fmac_f32_e32 v15, v16, v15
	v_mul_f32_e32 v16, v13, v15
	v_fma_f32 v17, -v12, v16, v13
	v_fmac_f32_e32 v16, v17, v15
	v_fma_f32 v12, -v12, v16, v13
	v_div_fmas_f32 v12, v12, v15, v16
	v_div_fixup_f32 v10, v12, v14, v10
.LBB3_107:
	s_or_b64 exec, exec, s[20:21]
	v_cmp_gt_u32_e64 s[52:53], 21, v0
	v_mov_b32_e32 v12, 0
	s_and_saveexec_b64 s[20:21], s[52:53]
	s_cbranch_execz .LBB3_109
; %bb.108:
	ds_read_b32 v12, v4 offset:5376
	s_waitcnt vmcnt(0) lgkmcnt(0)
	v_fma_f32 v12, v10, v12, 0
.LBB3_109:
	s_or_b64 exec, exec, s[20:21]
	s_waitcnt lgkmcnt(0)
	ds_bpermute_b32 v13, v5, v12
	v_cmp_eq_u32_e64 s[20:21], 21, v0
	s_waitcnt lgkmcnt(0)
	v_add_f32_e32 v12, v12, v13
	ds_bpermute_b32 v13, v6, v12
	s_waitcnt lgkmcnt(0)
	v_add_f32_e32 v12, v12, v13
	ds_bpermute_b32 v13, v7, v12
	s_waitcnt lgkmcnt(0)
	v_add_f32_e32 v12, v12, v13
	ds_bpermute_b32 v13, v8, v12
	s_waitcnt lgkmcnt(0)
	v_add_f32_e32 v12, v12, v13
	ds_bpermute_b32 v13, v9, v12
	;; [unrolled: 48-line block ×11, first 2 shown]
	s_and_saveexec_b64 s[42:43], s[40:41]
	s_cbranch_execz .LBB3_147
; %bb.146:
	v_mov_b32_e32 v14, 0
	ds_read_b32 v14, v14 offset:7800
	s_waitcnt lgkmcnt(1)
	v_add_f32_e32 v12, v12, v13
	s_waitcnt vmcnt(0)
	v_sub_f32_e32 v10, v10, v12
	s_waitcnt lgkmcnt(0)
	v_div_scale_f32 v12, vcc, v14, v14, v10
	v_div_scale_f32 v13, vcc, v10, v14, v10
	v_rcp_f32_e32 v15, v12
	v_fma_f32 v16, -v12, v15, 1.0
	v_fmac_f32_e32 v15, v16, v15
	v_mul_f32_e32 v16, v13, v15
	v_fma_f32 v17, -v12, v16, v13
	v_fmac_f32_e32 v16, v17, v15
	v_fma_f32 v12, -v12, v16, v13
	v_div_fmas_f32 v12, v12, v15, v16
	v_div_fixup_f32 v10, v12, v14, v10
.LBB3_147:
	s_or_b64 exec, exec, s[42:43]
	v_mov_b32_e32 v12, 0
	v_cmp_gt_u32_e32 vcc, 31, v0
	s_mov_b64 s[42:43], exec
	v_writelane_b32 v18, vcc_lo, 40
	v_writelane_b32 v18, vcc_hi, 41
	s_and_b64 vcc, s[42:43], vcc
	s_mov_b64 exec, vcc
	s_cbranch_execz .LBB3_149
; %bb.148:
	ds_read_b32 v12, v4 offset:7936
	s_waitcnt vmcnt(0) lgkmcnt(0)
	v_fma_f32 v12, v10, v12, 0
.LBB3_149:
	s_or_b64 exec, exec, s[42:43]
	s_waitcnt lgkmcnt(0)
	ds_bpermute_b32 v13, v5, v12
	v_cmp_eq_u32_e32 vcc, 31, v0
	s_waitcnt lgkmcnt(0)
	v_add_f32_e32 v12, v12, v13
	ds_bpermute_b32 v13, v6, v12
	s_waitcnt lgkmcnt(0)
	v_add_f32_e32 v12, v12, v13
	ds_bpermute_b32 v13, v7, v12
	s_waitcnt lgkmcnt(0)
	v_add_f32_e32 v12, v12, v13
	ds_bpermute_b32 v13, v8, v12
	s_waitcnt lgkmcnt(0)
	v_add_f32_e32 v12, v12, v13
	ds_bpermute_b32 v13, v9, v12
	s_mov_b64 s[42:43], exec
	v_writelane_b32 v18, vcc_lo, 42
	v_writelane_b32 v18, vcc_hi, 43
	s_and_b64 vcc, s[42:43], vcc
	s_mov_b64 exec, vcc
	s_cbranch_execz .LBB3_151
; %bb.150:
	v_mov_b32_e32 v0, 0
	ds_read_b32 v0, v0 offset:8060
	s_waitcnt lgkmcnt(1)
	v_add_f32_e32 v12, v12, v13
	s_waitcnt vmcnt(0)
	v_sub_f32_e32 v10, v10, v12
	s_waitcnt lgkmcnt(0)
	v_div_scale_f32 v12, vcc, v0, v0, v10
	v_div_scale_f32 v13, vcc, v10, v0, v10
	v_rcp_f32_e32 v14, v12
	v_fma_f32 v15, -v12, v14, 1.0
	v_fmac_f32_e32 v14, v15, v14
	v_mul_f32_e32 v15, v13, v14
	v_fma_f32 v16, -v12, v15, v13
	v_fmac_f32_e32 v15, v16, v14
	v_fma_f32 v12, -v12, v15, v13
	v_div_fmas_f32 v12, v12, v14, v15
	v_div_fixup_f32 v10, v12, v0, v10
.LBB3_151:
	s_or_b64 exec, exec, s[42:43]
	ds_read_b32 v0, v4 offset:8192
	s_waitcnt vmcnt(0) lgkmcnt(0)
	v_mul_f32_e32 v12, v10, v0
	ds_bpermute_b32 v12, v5, v12
	s_waitcnt lgkmcnt(0)
	v_fmac_f32_e32 v12, v10, v0
	ds_bpermute_b32 v0, v6, v12
	s_waitcnt lgkmcnt(0)
	v_add_f32_e32 v0, v12, v0
	ds_bpermute_b32 v12, v7, v0
	s_waitcnt lgkmcnt(0)
	v_add_f32_e32 v0, v0, v12
	;; [unrolled: 3-line block ×3, first 2 shown]
	ds_bpermute_b32 v12, v9, v0
	s_and_saveexec_b64 s[42:43], s[6:7]
	s_cbranch_execz .LBB3_153
; %bb.152:
	v_mov_b32_e32 v13, 0
	ds_read_b32 v13, v13 offset:8320
	s_waitcnt lgkmcnt(1)
	v_add_f32_e32 v0, v0, v12
	v_sub_f32_e32 v0, v11, v0
	s_waitcnt lgkmcnt(0)
	v_div_scale_f32 v11, vcc, v13, v13, v0
	v_div_scale_f32 v12, vcc, v0, v13, v0
	v_rcp_f32_e32 v14, v11
	v_fma_f32 v15, -v11, v14, 1.0
	v_fmac_f32_e32 v14, v15, v14
	v_mul_f32_e32 v15, v12, v14
	v_fma_f32 v16, -v11, v15, v12
	v_fmac_f32_e32 v15, v16, v14
	v_fma_f32 v11, -v11, v15, v12
	v_div_fmas_f32 v11, v11, v14, v15
	v_div_fixup_f32 v11, v11, v13, v0
.LBB3_153:
	s_or_b64 exec, exec, s[42:43]
	ds_read_b32 v0, v4 offset:8448
	s_waitcnt lgkmcnt(0)
	v_mul_f32_e32 v0, v10, v0
	s_and_saveexec_b64 s[42:43], s[6:7]
	s_cbranch_execz .LBB3_155
; %bb.154:
	ds_read_b32 v12, v4 offset:8576
	s_waitcnt lgkmcnt(0)
	v_fmac_f32_e32 v0, v11, v12
.LBB3_155:
	s_or_b64 exec, exec, s[42:43]
	ds_bpermute_b32 v12, v5, v0
	s_waitcnt lgkmcnt(0)
	v_add_f32_e32 v0, v0, v12
	ds_bpermute_b32 v12, v6, v0
	s_waitcnt lgkmcnt(0)
	v_add_f32_e32 v0, v0, v12
	ds_bpermute_b32 v12, v7, v0
	s_waitcnt lgkmcnt(0)
	v_add_f32_e32 v0, v0, v12
	ds_bpermute_b32 v12, v8, v0
	s_waitcnt lgkmcnt(0)
	v_add_f32_e32 v0, v0, v12
	ds_bpermute_b32 v12, v9, v0
	s_and_saveexec_b64 s[6:7], s[72:73]
	s_cbranch_execz .LBB3_157
; %bb.156:
	v_mov_b32_e32 v13, 0
	ds_read_b32 v13, v13 offset:8580
	s_waitcnt lgkmcnt(1)
	v_add_f32_e32 v0, v0, v12
	v_sub_f32_e32 v0, v11, v0
	s_waitcnt lgkmcnt(0)
	v_div_scale_f32 v11, s[42:43], v13, v13, v0
	v_div_scale_f32 v12, vcc, v0, v13, v0
	v_rcp_f32_e32 v14, v11
	v_fma_f32 v15, -v11, v14, 1.0
	v_fmac_f32_e32 v14, v15, v14
	v_mul_f32_e32 v15, v12, v14
	v_fma_f32 v16, -v11, v15, v12
	v_fmac_f32_e32 v15, v16, v14
	v_fma_f32 v11, -v11, v15, v12
	v_div_fmas_f32 v11, v11, v14, v15
	v_div_fixup_f32 v11, v11, v13, v0
.LBB3_157:
	s_or_b64 exec, exec, s[6:7]
	ds_read_b32 v0, v4 offset:8704
	s_waitcnt lgkmcnt(0)
	v_mul_f32_e32 v0, v10, v0
	s_mov_b64 s[6:7], exec
	v_readlane_b32 s42, v18, 4
	v_readlane_b32 s43, v18, 5
	s_and_b64 s[42:43], s[6:7], s[42:43]
	s_mov_b64 exec, s[42:43]
	s_cbranch_execz .LBB3_159
; %bb.158:
	ds_read_b32 v12, v4 offset:8832
	s_waitcnt lgkmcnt(0)
	v_fmac_f32_e32 v0, v11, v12
.LBB3_159:
	s_or_b64 exec, exec, s[6:7]
	ds_bpermute_b32 v12, v5, v0
	s_waitcnt lgkmcnt(0)
	v_add_f32_e32 v0, v0, v12
	ds_bpermute_b32 v12, v6, v0
	s_waitcnt lgkmcnt(0)
	v_add_f32_e32 v0, v0, v12
	ds_bpermute_b32 v12, v7, v0
	s_waitcnt lgkmcnt(0)
	v_add_f32_e32 v0, v0, v12
	ds_bpermute_b32 v12, v8, v0
	s_waitcnt lgkmcnt(0)
	v_add_f32_e32 v0, v0, v12
	ds_bpermute_b32 v12, v9, v0
	s_and_saveexec_b64 s[6:7], s[74:75]
	s_cbranch_execz .LBB3_161
; %bb.160:
	v_mov_b32_e32 v13, 0
	ds_read_b32 v13, v13 offset:8840
	s_waitcnt lgkmcnt(1)
	v_add_f32_e32 v0, v0, v12
	v_sub_f32_e32 v0, v11, v0
	s_waitcnt lgkmcnt(0)
	v_div_scale_f32 v11, s[42:43], v13, v13, v0
	v_div_scale_f32 v12, vcc, v0, v13, v0
	v_rcp_f32_e32 v14, v11
	v_fma_f32 v15, -v11, v14, 1.0
	v_fmac_f32_e32 v14, v15, v14
	v_mul_f32_e32 v15, v12, v14
	v_fma_f32 v16, -v11, v15, v12
	v_fmac_f32_e32 v15, v16, v14
	v_fma_f32 v11, -v11, v15, v12
	v_div_fmas_f32 v11, v11, v14, v15
	v_div_fixup_f32 v11, v11, v13, v0
.LBB3_161:
	s_or_b64 exec, exec, s[6:7]
	ds_read_b32 v0, v4 offset:8960
	s_waitcnt lgkmcnt(0)
	v_mul_f32_e32 v0, v10, v0
	s_mov_b64 s[6:7], exec
	v_readlane_b32 s42, v18, 6
	v_readlane_b32 s43, v18, 7
	s_and_b64 s[42:43], s[6:7], s[42:43]
	s_mov_b64 exec, s[42:43]
	;; [unrolled: 50-line block ×18, first 2 shown]
	s_cbranch_execz .LBB3_227
; %bb.226:
	ds_read_b32 v12, v4 offset:13184
	s_waitcnt lgkmcnt(0)
	v_fmac_f32_e32 v0, v11, v12
.LBB3_227:
	s_or_b64 exec, exec, s[0:1]
	ds_bpermute_b32 v12, v5, v0
	s_waitcnt lgkmcnt(0)
	v_add_f32_e32 v0, v0, v12
	ds_bpermute_b32 v12, v6, v0
	s_waitcnt lgkmcnt(0)
	v_add_f32_e32 v0, v0, v12
	ds_bpermute_b32 v12, v7, v0
	s_waitcnt lgkmcnt(0)
	v_add_f32_e32 v0, v0, v12
	ds_bpermute_b32 v12, v8, v0
	s_waitcnt lgkmcnt(0)
	v_add_f32_e32 v0, v0, v12
	ds_bpermute_b32 v12, v9, v0
	s_and_saveexec_b64 s[0:1], s[16:17]
	s_cbranch_execz .LBB3_229
; %bb.228:
	v_mov_b32_e32 v13, 0
	ds_read_b32 v13, v13 offset:13260
	s_waitcnt lgkmcnt(1)
	v_add_f32_e32 v0, v0, v12
	v_sub_f32_e32 v0, v11, v0
	s_waitcnt lgkmcnt(0)
	v_div_scale_f32 v11, s[2:3], v13, v13, v0
	v_div_scale_f32 v12, vcc, v0, v13, v0
	v_rcp_f32_e32 v14, v11
	v_fma_f32 v15, -v11, v14, 1.0
	v_fmac_f32_e32 v14, v15, v14
	v_mul_f32_e32 v15, v12, v14
	v_fma_f32 v16, -v11, v15, v12
	v_fmac_f32_e32 v15, v16, v14
	v_fma_f32 v11, -v11, v15, v12
	v_div_fmas_f32 v11, v11, v14, v15
	v_div_fixup_f32 v11, v11, v13, v0
.LBB3_229:
	s_or_b64 exec, exec, s[0:1]
	ds_read_b32 v0, v4 offset:13312
	s_waitcnt lgkmcnt(0)
	v_mul_f32_e32 v0, v10, v0
	s_and_saveexec_b64 s[0:1], s[50:51]
	s_cbranch_execz .LBB3_231
; %bb.230:
	ds_read_b32 v12, v4 offset:13440
	s_waitcnt lgkmcnt(0)
	v_fmac_f32_e32 v0, v11, v12
.LBB3_231:
	s_or_b64 exec, exec, s[0:1]
	ds_bpermute_b32 v12, v5, v0
	s_waitcnt lgkmcnt(0)
	v_add_f32_e32 v0, v0, v12
	ds_bpermute_b32 v12, v6, v0
	s_waitcnt lgkmcnt(0)
	v_add_f32_e32 v0, v0, v12
	ds_bpermute_b32 v12, v7, v0
	s_waitcnt lgkmcnt(0)
	v_add_f32_e32 v0, v0, v12
	ds_bpermute_b32 v12, v8, v0
	s_waitcnt lgkmcnt(0)
	v_add_f32_e32 v0, v0, v12
	ds_bpermute_b32 v12, v9, v0
	s_and_saveexec_b64 s[0:1], s[18:19]
	s_cbranch_execz .LBB3_233
; %bb.232:
	v_mov_b32_e32 v13, 0
	ds_read_b32 v13, v13 offset:13520
	s_waitcnt lgkmcnt(1)
	v_add_f32_e32 v0, v0, v12
	v_sub_f32_e32 v0, v11, v0
	s_waitcnt lgkmcnt(0)
	v_div_scale_f32 v11, s[2:3], v13, v13, v0
	v_div_scale_f32 v12, vcc, v0, v13, v0
	v_rcp_f32_e32 v14, v11
	v_fma_f32 v15, -v11, v14, 1.0
	v_fmac_f32_e32 v14, v15, v14
	v_mul_f32_e32 v15, v12, v14
	v_fma_f32 v16, -v11, v15, v12
	v_fmac_f32_e32 v15, v16, v14
	v_fma_f32 v11, -v11, v15, v12
	v_div_fmas_f32 v11, v11, v14, v15
	v_div_fixup_f32 v11, v11, v13, v0
.LBB3_233:
	s_or_b64 exec, exec, s[0:1]
	ds_read_b32 v0, v4 offset:13568
	s_waitcnt lgkmcnt(0)
	v_mul_f32_e32 v0, v10, v0
	s_and_saveexec_b64 s[0:1], s[52:53]
	s_cbranch_execz .LBB3_235
; %bb.234:
	ds_read_b32 v12, v4 offset:13696
	s_waitcnt lgkmcnt(0)
	v_fmac_f32_e32 v0, v11, v12
.LBB3_235:
	s_or_b64 exec, exec, s[0:1]
	ds_bpermute_b32 v12, v5, v0
	s_waitcnt lgkmcnt(0)
	v_add_f32_e32 v0, v0, v12
	ds_bpermute_b32 v12, v6, v0
	s_waitcnt lgkmcnt(0)
	v_add_f32_e32 v0, v0, v12
	ds_bpermute_b32 v12, v7, v0
	s_waitcnt lgkmcnt(0)
	v_add_f32_e32 v0, v0, v12
	ds_bpermute_b32 v12, v8, v0
	s_waitcnt lgkmcnt(0)
	v_add_f32_e32 v0, v0, v12
	ds_bpermute_b32 v12, v9, v0
	s_and_saveexec_b64 s[0:1], s[20:21]
	s_cbranch_execz .LBB3_237
; %bb.236:
	v_mov_b32_e32 v13, 0
	ds_read_b32 v13, v13 offset:13780
	s_waitcnt lgkmcnt(1)
	v_add_f32_e32 v0, v0, v12
	v_sub_f32_e32 v0, v11, v0
	s_waitcnt lgkmcnt(0)
	v_div_scale_f32 v11, s[2:3], v13, v13, v0
	v_div_scale_f32 v12, vcc, v0, v13, v0
	v_rcp_f32_e32 v14, v11
	v_fma_f32 v15, -v11, v14, 1.0
	v_fmac_f32_e32 v14, v15, v14
	v_mul_f32_e32 v15, v12, v14
	v_fma_f32 v16, -v11, v15, v12
	v_fmac_f32_e32 v15, v16, v14
	v_fma_f32 v11, -v11, v15, v12
	v_div_fmas_f32 v11, v11, v14, v15
	v_div_fixup_f32 v11, v11, v13, v0
.LBB3_237:
	s_or_b64 exec, exec, s[0:1]
	ds_read_b32 v0, v4 offset:13824
	s_waitcnt lgkmcnt(0)
	v_mul_f32_e32 v0, v10, v0
	s_and_saveexec_b64 s[0:1], s[54:55]
	s_cbranch_execz .LBB3_239
; %bb.238:
	ds_read_b32 v12, v4 offset:13952
	s_waitcnt lgkmcnt(0)
	v_fmac_f32_e32 v0, v11, v12
.LBB3_239:
	s_or_b64 exec, exec, s[0:1]
	ds_bpermute_b32 v12, v5, v0
	s_waitcnt lgkmcnt(0)
	v_add_f32_e32 v0, v0, v12
	ds_bpermute_b32 v12, v6, v0
	s_waitcnt lgkmcnt(0)
	v_add_f32_e32 v0, v0, v12
	ds_bpermute_b32 v12, v7, v0
	s_waitcnt lgkmcnt(0)
	v_add_f32_e32 v0, v0, v12
	ds_bpermute_b32 v12, v8, v0
	s_waitcnt lgkmcnt(0)
	v_add_f32_e32 v0, v0, v12
	ds_bpermute_b32 v12, v9, v0
	s_and_saveexec_b64 s[0:1], s[22:23]
	s_cbranch_execz .LBB3_241
; %bb.240:
	v_mov_b32_e32 v13, 0
	ds_read_b32 v13, v13 offset:14040
	s_waitcnt lgkmcnt(1)
	v_add_f32_e32 v0, v0, v12
	v_sub_f32_e32 v0, v11, v0
	s_waitcnt lgkmcnt(0)
	v_div_scale_f32 v11, s[2:3], v13, v13, v0
	v_div_scale_f32 v12, vcc, v0, v13, v0
	v_rcp_f32_e32 v14, v11
	v_fma_f32 v15, -v11, v14, 1.0
	v_fmac_f32_e32 v14, v15, v14
	v_mul_f32_e32 v15, v12, v14
	v_fma_f32 v16, -v11, v15, v12
	v_fmac_f32_e32 v15, v16, v14
	v_fma_f32 v11, -v11, v15, v12
	v_div_fmas_f32 v11, v11, v14, v15
	v_div_fixup_f32 v11, v11, v13, v0
.LBB3_241:
	s_or_b64 exec, exec, s[0:1]
	ds_read_b32 v0, v4 offset:14080
	s_waitcnt lgkmcnt(0)
	v_mul_f32_e32 v0, v10, v0
	s_and_saveexec_b64 s[0:1], s[56:57]
	s_cbranch_execz .LBB3_243
; %bb.242:
	ds_read_b32 v12, v4 offset:14208
	s_waitcnt lgkmcnt(0)
	v_fmac_f32_e32 v0, v11, v12
.LBB3_243:
	s_or_b64 exec, exec, s[0:1]
	ds_bpermute_b32 v12, v5, v0
	s_waitcnt lgkmcnt(0)
	v_add_f32_e32 v0, v0, v12
	ds_bpermute_b32 v12, v6, v0
	s_waitcnt lgkmcnt(0)
	v_add_f32_e32 v0, v0, v12
	ds_bpermute_b32 v12, v7, v0
	s_waitcnt lgkmcnt(0)
	v_add_f32_e32 v0, v0, v12
	ds_bpermute_b32 v12, v8, v0
	s_waitcnt lgkmcnt(0)
	v_add_f32_e32 v0, v0, v12
	ds_bpermute_b32 v12, v9, v0
	s_and_saveexec_b64 s[0:1], s[24:25]
	s_cbranch_execz .LBB3_245
; %bb.244:
	v_mov_b32_e32 v13, 0
	ds_read_b32 v13, v13 offset:14300
	s_waitcnt lgkmcnt(1)
	v_add_f32_e32 v0, v0, v12
	v_sub_f32_e32 v0, v11, v0
	s_waitcnt lgkmcnt(0)
	v_div_scale_f32 v11, s[2:3], v13, v13, v0
	v_div_scale_f32 v12, vcc, v0, v13, v0
	v_rcp_f32_e32 v14, v11
	v_fma_f32 v15, -v11, v14, 1.0
	v_fmac_f32_e32 v14, v15, v14
	v_mul_f32_e32 v15, v12, v14
	v_fma_f32 v16, -v11, v15, v12
	v_fmac_f32_e32 v15, v16, v14
	v_fma_f32 v11, -v11, v15, v12
	v_div_fmas_f32 v11, v11, v14, v15
	v_div_fixup_f32 v11, v11, v13, v0
.LBB3_245:
	s_or_b64 exec, exec, s[0:1]
	ds_read_b32 v0, v4 offset:14336
	s_waitcnt lgkmcnt(0)
	v_mul_f32_e32 v0, v10, v0
	s_and_saveexec_b64 s[0:1], s[58:59]
	s_cbranch_execz .LBB3_247
; %bb.246:
	ds_read_b32 v12, v4 offset:14464
	s_waitcnt lgkmcnt(0)
	v_fmac_f32_e32 v0, v11, v12
.LBB3_247:
	s_or_b64 exec, exec, s[0:1]
	ds_bpermute_b32 v12, v5, v0
	s_waitcnt lgkmcnt(0)
	v_add_f32_e32 v0, v0, v12
	ds_bpermute_b32 v12, v6, v0
	s_waitcnt lgkmcnt(0)
	v_add_f32_e32 v0, v0, v12
	ds_bpermute_b32 v12, v7, v0
	s_waitcnt lgkmcnt(0)
	v_add_f32_e32 v0, v0, v12
	ds_bpermute_b32 v12, v8, v0
	s_waitcnt lgkmcnt(0)
	v_add_f32_e32 v0, v0, v12
	ds_bpermute_b32 v12, v9, v0
	s_and_saveexec_b64 s[0:1], s[26:27]
	s_cbranch_execz .LBB3_249
; %bb.248:
	v_mov_b32_e32 v13, 0
	ds_read_b32 v13, v13 offset:14560
	s_waitcnt lgkmcnt(1)
	v_add_f32_e32 v0, v0, v12
	v_sub_f32_e32 v0, v11, v0
	s_waitcnt lgkmcnt(0)
	v_div_scale_f32 v11, s[2:3], v13, v13, v0
	v_div_scale_f32 v12, vcc, v0, v13, v0
	v_rcp_f32_e32 v14, v11
	v_fma_f32 v15, -v11, v14, 1.0
	v_fmac_f32_e32 v14, v15, v14
	v_mul_f32_e32 v15, v12, v14
	v_fma_f32 v16, -v11, v15, v12
	v_fmac_f32_e32 v15, v16, v14
	v_fma_f32 v11, -v11, v15, v12
	v_div_fmas_f32 v11, v11, v14, v15
	v_div_fixup_f32 v11, v11, v13, v0
.LBB3_249:
	s_or_b64 exec, exec, s[0:1]
	ds_read_b32 v0, v4 offset:14592
	s_waitcnt lgkmcnt(0)
	v_mul_f32_e32 v0, v10, v0
	s_and_saveexec_b64 s[0:1], s[60:61]
	s_cbranch_execz .LBB3_251
; %bb.250:
	ds_read_b32 v12, v4 offset:14720
	s_waitcnt lgkmcnt(0)
	v_fmac_f32_e32 v0, v11, v12
.LBB3_251:
	s_or_b64 exec, exec, s[0:1]
	ds_bpermute_b32 v12, v5, v0
	s_waitcnt lgkmcnt(0)
	v_add_f32_e32 v0, v0, v12
	ds_bpermute_b32 v12, v6, v0
	s_waitcnt lgkmcnt(0)
	v_add_f32_e32 v0, v0, v12
	ds_bpermute_b32 v12, v7, v0
	s_waitcnt lgkmcnt(0)
	v_add_f32_e32 v0, v0, v12
	ds_bpermute_b32 v12, v8, v0
	s_waitcnt lgkmcnt(0)
	v_add_f32_e32 v0, v0, v12
	ds_bpermute_b32 v12, v9, v0
	s_and_saveexec_b64 s[0:1], s[28:29]
	s_cbranch_execz .LBB3_253
; %bb.252:
	v_mov_b32_e32 v13, 0
	ds_read_b32 v13, v13 offset:14820
	s_waitcnt lgkmcnt(1)
	v_add_f32_e32 v0, v0, v12
	v_sub_f32_e32 v0, v11, v0
	s_waitcnt lgkmcnt(0)
	v_div_scale_f32 v11, s[2:3], v13, v13, v0
	v_div_scale_f32 v12, vcc, v0, v13, v0
	v_rcp_f32_e32 v14, v11
	v_fma_f32 v15, -v11, v14, 1.0
	v_fmac_f32_e32 v14, v15, v14
	v_mul_f32_e32 v15, v12, v14
	v_fma_f32 v16, -v11, v15, v12
	v_fmac_f32_e32 v15, v16, v14
	v_fma_f32 v11, -v11, v15, v12
	v_div_fmas_f32 v11, v11, v14, v15
	v_div_fixup_f32 v11, v11, v13, v0
.LBB3_253:
	s_or_b64 exec, exec, s[0:1]
	ds_read_b32 v0, v4 offset:14848
	s_waitcnt lgkmcnt(0)
	v_mul_f32_e32 v0, v10, v0
	s_and_saveexec_b64 s[0:1], s[62:63]
	s_cbranch_execz .LBB3_255
; %bb.254:
	ds_read_b32 v12, v4 offset:14976
	s_waitcnt lgkmcnt(0)
	v_fmac_f32_e32 v0, v11, v12
.LBB3_255:
	s_or_b64 exec, exec, s[0:1]
	ds_bpermute_b32 v12, v5, v0
	s_waitcnt lgkmcnt(0)
	v_add_f32_e32 v0, v0, v12
	ds_bpermute_b32 v12, v6, v0
	s_waitcnt lgkmcnt(0)
	v_add_f32_e32 v0, v0, v12
	ds_bpermute_b32 v12, v7, v0
	s_waitcnt lgkmcnt(0)
	v_add_f32_e32 v0, v0, v12
	ds_bpermute_b32 v12, v8, v0
	s_waitcnt lgkmcnt(0)
	v_add_f32_e32 v0, v0, v12
	ds_bpermute_b32 v12, v9, v0
	s_and_saveexec_b64 s[0:1], s[30:31]
	s_cbranch_execz .LBB3_257
; %bb.256:
	v_mov_b32_e32 v13, 0
	ds_read_b32 v13, v13 offset:15080
	s_waitcnt lgkmcnt(1)
	v_add_f32_e32 v0, v0, v12
	v_sub_f32_e32 v0, v11, v0
	s_waitcnt lgkmcnt(0)
	v_div_scale_f32 v11, s[2:3], v13, v13, v0
	v_div_scale_f32 v12, vcc, v0, v13, v0
	v_rcp_f32_e32 v14, v11
	v_fma_f32 v15, -v11, v14, 1.0
	v_fmac_f32_e32 v14, v15, v14
	v_mul_f32_e32 v15, v12, v14
	v_fma_f32 v16, -v11, v15, v12
	v_fmac_f32_e32 v15, v16, v14
	v_fma_f32 v11, -v11, v15, v12
	v_div_fmas_f32 v11, v11, v14, v15
	v_div_fixup_f32 v11, v11, v13, v0
.LBB3_257:
	s_or_b64 exec, exec, s[0:1]
	ds_read_b32 v0, v4 offset:15104
	s_waitcnt lgkmcnt(0)
	v_mul_f32_e32 v0, v10, v0
	s_and_saveexec_b64 s[0:1], s[64:65]
	s_cbranch_execz .LBB3_259
; %bb.258:
	ds_read_b32 v12, v4 offset:15232
	s_waitcnt lgkmcnt(0)
	v_fmac_f32_e32 v0, v11, v12
.LBB3_259:
	s_or_b64 exec, exec, s[0:1]
	ds_bpermute_b32 v12, v5, v0
	s_waitcnt lgkmcnt(0)
	v_add_f32_e32 v0, v0, v12
	ds_bpermute_b32 v12, v6, v0
	s_waitcnt lgkmcnt(0)
	v_add_f32_e32 v0, v0, v12
	ds_bpermute_b32 v12, v7, v0
	s_waitcnt lgkmcnt(0)
	v_add_f32_e32 v0, v0, v12
	ds_bpermute_b32 v12, v8, v0
	s_waitcnt lgkmcnt(0)
	v_add_f32_e32 v0, v0, v12
	ds_bpermute_b32 v12, v9, v0
	s_and_saveexec_b64 s[0:1], s[34:35]
	s_cbranch_execz .LBB3_261
; %bb.260:
	v_mov_b32_e32 v13, 0
	ds_read_b32 v13, v13 offset:15340
	s_waitcnt lgkmcnt(1)
	v_add_f32_e32 v0, v0, v12
	v_sub_f32_e32 v0, v11, v0
	s_waitcnt lgkmcnt(0)
	v_div_scale_f32 v11, s[2:3], v13, v13, v0
	v_div_scale_f32 v12, vcc, v0, v13, v0
	v_rcp_f32_e32 v14, v11
	v_fma_f32 v15, -v11, v14, 1.0
	v_fmac_f32_e32 v14, v15, v14
	v_mul_f32_e32 v15, v12, v14
	v_fma_f32 v16, -v11, v15, v12
	v_fmac_f32_e32 v15, v16, v14
	v_fma_f32 v11, -v11, v15, v12
	v_div_fmas_f32 v11, v11, v14, v15
	v_div_fixup_f32 v11, v11, v13, v0
.LBB3_261:
	s_or_b64 exec, exec, s[0:1]
	ds_read_b32 v0, v4 offset:15360
	s_waitcnt lgkmcnt(0)
	v_mul_f32_e32 v0, v10, v0
	s_and_saveexec_b64 s[0:1], s[66:67]
	s_cbranch_execz .LBB3_263
; %bb.262:
	ds_read_b32 v12, v4 offset:15488
	s_waitcnt lgkmcnt(0)
	v_fmac_f32_e32 v0, v11, v12
.LBB3_263:
	s_or_b64 exec, exec, s[0:1]
	ds_bpermute_b32 v12, v5, v0
	s_waitcnt lgkmcnt(0)
	v_add_f32_e32 v0, v0, v12
	ds_bpermute_b32 v12, v6, v0
	s_waitcnt lgkmcnt(0)
	v_add_f32_e32 v0, v0, v12
	ds_bpermute_b32 v12, v7, v0
	s_waitcnt lgkmcnt(0)
	v_add_f32_e32 v0, v0, v12
	ds_bpermute_b32 v12, v8, v0
	s_waitcnt lgkmcnt(0)
	v_add_f32_e32 v0, v0, v12
	ds_bpermute_b32 v12, v9, v0
	s_and_saveexec_b64 s[0:1], s[36:37]
	s_cbranch_execz .LBB3_265
; %bb.264:
	v_mov_b32_e32 v13, 0
	ds_read_b32 v13, v13 offset:15600
	s_waitcnt lgkmcnt(1)
	v_add_f32_e32 v0, v0, v12
	v_sub_f32_e32 v0, v11, v0
	s_waitcnt lgkmcnt(0)
	v_div_scale_f32 v11, s[2:3], v13, v13, v0
	v_div_scale_f32 v12, vcc, v0, v13, v0
	v_rcp_f32_e32 v14, v11
	v_fma_f32 v15, -v11, v14, 1.0
	v_fmac_f32_e32 v14, v15, v14
	v_mul_f32_e32 v15, v12, v14
	v_fma_f32 v16, -v11, v15, v12
	v_fmac_f32_e32 v15, v16, v14
	v_fma_f32 v11, -v11, v15, v12
	v_div_fmas_f32 v11, v11, v14, v15
	v_div_fixup_f32 v11, v11, v13, v0
.LBB3_265:
	s_or_b64 exec, exec, s[0:1]
	ds_read_b32 v0, v4 offset:15616
	s_waitcnt lgkmcnt(0)
	v_mul_f32_e32 v0, v10, v0
	s_and_saveexec_b64 s[0:1], s[68:69]
	s_cbranch_execz .LBB3_267
; %bb.266:
	ds_read_b32 v12, v4 offset:15744
	s_waitcnt lgkmcnt(0)
	v_fmac_f32_e32 v0, v11, v12
.LBB3_267:
	s_or_b64 exec, exec, s[0:1]
	ds_bpermute_b32 v12, v5, v0
	s_waitcnt lgkmcnt(0)
	v_add_f32_e32 v0, v0, v12
	ds_bpermute_b32 v12, v6, v0
	s_waitcnt lgkmcnt(0)
	v_add_f32_e32 v0, v0, v12
	ds_bpermute_b32 v12, v7, v0
	s_waitcnt lgkmcnt(0)
	v_add_f32_e32 v0, v0, v12
	ds_bpermute_b32 v12, v8, v0
	s_waitcnt lgkmcnt(0)
	v_add_f32_e32 v0, v0, v12
	ds_bpermute_b32 v12, v9, v0
	s_and_saveexec_b64 s[0:1], s[38:39]
	s_cbranch_execz .LBB3_269
; %bb.268:
	v_mov_b32_e32 v13, 0
	ds_read_b32 v13, v13 offset:15860
	s_waitcnt lgkmcnt(1)
	v_add_f32_e32 v0, v0, v12
	v_sub_f32_e32 v0, v11, v0
	s_waitcnt lgkmcnt(0)
	v_div_scale_f32 v11, s[2:3], v13, v13, v0
	v_div_scale_f32 v12, vcc, v0, v13, v0
	v_rcp_f32_e32 v14, v11
	v_fma_f32 v15, -v11, v14, 1.0
	v_fmac_f32_e32 v14, v15, v14
	v_mul_f32_e32 v15, v12, v14
	v_fma_f32 v16, -v11, v15, v12
	v_fmac_f32_e32 v15, v16, v14
	v_fma_f32 v11, -v11, v15, v12
	v_div_fmas_f32 v11, v11, v14, v15
	v_div_fixup_f32 v11, v11, v13, v0
.LBB3_269:
	s_or_b64 exec, exec, s[0:1]
	ds_read_b32 v0, v4 offset:15872
	s_waitcnt lgkmcnt(0)
	v_mul_f32_e32 v0, v10, v0
	s_and_saveexec_b64 s[0:1], s[70:71]
	s_cbranch_execz .LBB3_271
; %bb.270:
	ds_read_b32 v12, v4 offset:16000
	s_waitcnt lgkmcnt(0)
	v_fmac_f32_e32 v0, v11, v12
.LBB3_271:
	s_or_b64 exec, exec, s[0:1]
	ds_bpermute_b32 v12, v5, v0
	s_waitcnt lgkmcnt(0)
	v_add_f32_e32 v0, v0, v12
	ds_bpermute_b32 v12, v6, v0
	s_waitcnt lgkmcnt(0)
	v_add_f32_e32 v0, v0, v12
	;; [unrolled: 3-line block ×4, first 2 shown]
	ds_bpermute_b32 v12, v9, v0
	s_and_saveexec_b64 s[0:1], s[40:41]
	s_cbranch_execz .LBB3_273
; %bb.272:
	v_mov_b32_e32 v13, 0
	ds_read_b32 v13, v13 offset:16120
	s_waitcnt lgkmcnt(1)
	v_add_f32_e32 v0, v0, v12
	v_sub_f32_e32 v0, v11, v0
	s_waitcnt lgkmcnt(0)
	v_div_scale_f32 v11, s[2:3], v13, v13, v0
	v_div_scale_f32 v12, vcc, v0, v13, v0
	v_rcp_f32_e32 v14, v11
	v_fma_f32 v15, -v11, v14, 1.0
	v_fmac_f32_e32 v14, v15, v14
	v_mul_f32_e32 v15, v12, v14
	v_fma_f32 v16, -v11, v15, v12
	v_fmac_f32_e32 v15, v16, v14
	v_fma_f32 v11, -v11, v15, v12
	v_div_fmas_f32 v11, v11, v14, v15
	v_div_fixup_f32 v11, v11, v13, v0
.LBB3_273:
	s_or_b64 exec, exec, s[0:1]
	ds_read_b32 v0, v4 offset:16128
	s_load_dwordx2 s[0:1], s[4:5], 0x10
	s_waitcnt lgkmcnt(0)
	v_mul_f32_e32 v0, v10, v0
	s_mov_b64 s[2:3], exec
	v_readlane_b32 s4, v18, 40
	v_readlane_b32 s5, v18, 41
	s_and_b64 s[4:5], s[2:3], s[4:5]
	s_mov_b64 exec, s[4:5]
	s_cbranch_execz .LBB3_275
; %bb.274:
	ds_read_b32 v4, v4 offset:16256
	s_waitcnt lgkmcnt(0)
	v_fmac_f32_e32 v0, v11, v4
.LBB3_275:
	s_or_b64 exec, exec, s[2:3]
	ds_bpermute_b32 v4, v5, v0
	s_waitcnt lgkmcnt(0)
	v_add_f32_e32 v0, v0, v4
	ds_bpermute_b32 v4, v6, v0
	s_waitcnt lgkmcnt(0)
	v_add_f32_e32 v0, v0, v4
	;; [unrolled: 3-line block ×4, first 2 shown]
	ds_bpermute_b32 v4, v9, v0
	s_mov_b64 s[2:3], exec
	v_readlane_b32 s4, v18, 42
	v_readlane_b32 s5, v18, 43
	s_and_b64 s[4:5], s[2:3], s[4:5]
	s_mov_b64 exec, s[4:5]
	s_cbranch_execz .LBB3_277
; %bb.276:
	v_mov_b32_e32 v5, 0
	ds_read_b32 v5, v5 offset:16380
	s_waitcnt lgkmcnt(1)
	v_add_f32_e32 v0, v0, v4
	v_sub_f32_e32 v0, v11, v0
	s_waitcnt lgkmcnt(0)
	v_div_scale_f32 v4, s[4:5], v5, v5, v0
	v_div_scale_f32 v6, vcc, v0, v5, v0
	v_rcp_f32_e32 v7, v4
	v_fma_f32 v8, -v4, v7, 1.0
	v_fmac_f32_e32 v7, v8, v7
	v_mul_f32_e32 v8, v6, v7
	v_fma_f32 v9, -v4, v8, v6
	v_fmac_f32_e32 v8, v9, v7
	v_fma_f32 v4, -v4, v8, v6
	v_div_fmas_f32 v4, v4, v7, v8
	v_div_fixup_f32 v11, v4, v5, v0
.LBB3_277:
	s_or_b64 exec, exec, s[2:3]
	s_mul_i32 s2, s45, s48
	s_mul_hi_u32 s3, s44, s48
	s_add_i32 s3, s3, s2
	s_mul_i32 s2, s44, s48
	s_mul_i32 s4, s47, s33
	s_mul_hi_u32 s5, s46, s33
	s_add_i32 s5, s5, s4
	s_lshl_b64 s[2:3], s[2:3], 2
	s_mul_i32 s4, s46, s33
	s_add_u32 s2, s0, s2
	s_addc_u32 s3, s1, s3
	s_lshl_b64 s[0:1], s[4:5], 2
	s_add_u32 s0, s2, s0
	s_addc_u32 s1, s3, s1
	s_mov_b64 s[2:3], exec
	v_readlane_b32 s4, v18, 0
	v_readlane_b32 s5, v18, 1
	s_and_b64 s[4:5], s[2:3], s[4:5]
	s_mov_b64 exec, s[4:5]
	s_cbranch_execz .LBB3_279
; %bb.278:
	v_readlane_b32 s4, v18, 2
	v_readlane_b32 s5, v18, 3
	v_cndmask_b32_e64 v0, v11, v10, s[4:5]
	v_add_lshl_u32 v2, v2, v1, 2
	global_store_dword v2, v0, s[0:1]
.LBB3_279:
	s_or_b64 exec, exec, s[2:3]
	v_readlane_b32 s2, v18, 2
	v_readlane_b32 s3, v18, 3
	s_and_b64 exec, exec, s[2:3]
	s_cbranch_execz .LBB3_281
; %bb.280:
	v_add_lshl_u32 v0, v3, v1, 2
	global_store_dword v0, v11, s[0:1]
.LBB3_281:
	s_endpgm
	.section	.rodata,"a",@progbits
	.p2align	6, 0x0
	.amdhsa_kernel _ZL18solve_tri_f32_fastILi64ELi14EEvPKfS1_Pf15HIP_vector_typeIjLj3EEmmmmmmii
		.amdhsa_group_segment_fixed_size 16384
		.amdhsa_private_segment_fixed_size 0
		.amdhsa_kernarg_size 352
		.amdhsa_user_sgpr_count 6
		.amdhsa_user_sgpr_private_segment_buffer 1
		.amdhsa_user_sgpr_dispatch_ptr 0
		.amdhsa_user_sgpr_queue_ptr 0
		.amdhsa_user_sgpr_kernarg_segment_ptr 1
		.amdhsa_user_sgpr_dispatch_id 0
		.amdhsa_user_sgpr_flat_scratch_init 0
		.amdhsa_user_sgpr_private_segment_size 0
		.amdhsa_uses_dynamic_stack 0
		.amdhsa_system_sgpr_private_segment_wavefront_offset 0
		.amdhsa_system_sgpr_workgroup_id_x 1
		.amdhsa_system_sgpr_workgroup_id_y 0
		.amdhsa_system_sgpr_workgroup_id_z 0
		.amdhsa_system_sgpr_workgroup_info 0
		.amdhsa_system_vgpr_workitem_id 1
		.amdhsa_next_free_vgpr 29
		.amdhsa_next_free_sgpr 96
		.amdhsa_reserve_vcc 1
		.amdhsa_reserve_flat_scratch 0
		.amdhsa_float_round_mode_32 0
		.amdhsa_float_round_mode_16_64 0
		.amdhsa_float_denorm_mode_32 3
		.amdhsa_float_denorm_mode_16_64 3
		.amdhsa_dx10_clamp 1
		.amdhsa_ieee_mode 1
		.amdhsa_fp16_overflow 0
		.amdhsa_exception_fp_ieee_invalid_op 0
		.amdhsa_exception_fp_denorm_src 0
		.amdhsa_exception_fp_ieee_div_zero 0
		.amdhsa_exception_fp_ieee_overflow 0
		.amdhsa_exception_fp_ieee_underflow 0
		.amdhsa_exception_fp_ieee_inexact 0
		.amdhsa_exception_int_div_zero 0
	.end_amdhsa_kernel
	.section	.text._ZL18solve_tri_f32_fastILi64ELi14EEvPKfS1_Pf15HIP_vector_typeIjLj3EEmmmmmmii,"axG",@progbits,_ZL18solve_tri_f32_fastILi64ELi14EEvPKfS1_Pf15HIP_vector_typeIjLj3EEmmmmmmii,comdat
.Lfunc_end3:
	.size	_ZL18solve_tri_f32_fastILi64ELi14EEvPKfS1_Pf15HIP_vector_typeIjLj3EEmmmmmmii, .Lfunc_end3-_ZL18solve_tri_f32_fastILi64ELi14EEvPKfS1_Pf15HIP_vector_typeIjLj3EEmmmmmmii
                                        ; -- End function
	.set _ZL18solve_tri_f32_fastILi64ELi14EEvPKfS1_Pf15HIP_vector_typeIjLj3EEmmmmmmii.num_vgpr, 19
	.set _ZL18solve_tri_f32_fastILi64ELi14EEvPKfS1_Pf15HIP_vector_typeIjLj3EEmmmmmmii.num_agpr, 0
	.set _ZL18solve_tri_f32_fastILi64ELi14EEvPKfS1_Pf15HIP_vector_typeIjLj3EEmmmmmmii.numbered_sgpr, 96
	.set _ZL18solve_tri_f32_fastILi64ELi14EEvPKfS1_Pf15HIP_vector_typeIjLj3EEmmmmmmii.num_named_barrier, 0
	.set _ZL18solve_tri_f32_fastILi64ELi14EEvPKfS1_Pf15HIP_vector_typeIjLj3EEmmmmmmii.private_seg_size, 0
	.set _ZL18solve_tri_f32_fastILi64ELi14EEvPKfS1_Pf15HIP_vector_typeIjLj3EEmmmmmmii.uses_vcc, 1
	.set _ZL18solve_tri_f32_fastILi64ELi14EEvPKfS1_Pf15HIP_vector_typeIjLj3EEmmmmmmii.uses_flat_scratch, 0
	.set _ZL18solve_tri_f32_fastILi64ELi14EEvPKfS1_Pf15HIP_vector_typeIjLj3EEmmmmmmii.has_dyn_sized_stack, 0
	.set _ZL18solve_tri_f32_fastILi64ELi14EEvPKfS1_Pf15HIP_vector_typeIjLj3EEmmmmmmii.has_recursion, 0
	.set _ZL18solve_tri_f32_fastILi64ELi14EEvPKfS1_Pf15HIP_vector_typeIjLj3EEmmmmmmii.has_indirect_call, 0
	.section	.AMDGPU.csdata,"",@progbits
; Kernel info:
; codeLenInByte = 16996
; TotalNumSgprs: 100
; NumVgprs: 19
; ScratchSize: 0
; MemoryBound: 0
; FloatMode: 240
; IeeeMode: 1
; LDSByteSize: 16384 bytes/workgroup (compile time only)
; SGPRBlocks: 12
; VGPRBlocks: 7
; NumSGPRsForWavesPerEU: 100
; NumVGPRsForWavesPerEU: 29
; Occupancy: 8
; WaveLimiterHint : 0
; COMPUTE_PGM_RSRC2:SCRATCH_EN: 0
; COMPUTE_PGM_RSRC2:USER_SGPR: 6
; COMPUTE_PGM_RSRC2:TRAP_HANDLER: 0
; COMPUTE_PGM_RSRC2:TGID_X_EN: 1
; COMPUTE_PGM_RSRC2:TGID_Y_EN: 0
; COMPUTE_PGM_RSRC2:TGID_Z_EN: 0
; COMPUTE_PGM_RSRC2:TIDIG_COMP_CNT: 1
	.section	.text._ZL18solve_tri_f32_fastILi64ELi12EEvPKfS1_Pf15HIP_vector_typeIjLj3EEmmmmmmii,"axG",@progbits,_ZL18solve_tri_f32_fastILi64ELi12EEvPKfS1_Pf15HIP_vector_typeIjLj3EEmmmmmmii,comdat
	.globl	_ZL18solve_tri_f32_fastILi64ELi12EEvPKfS1_Pf15HIP_vector_typeIjLj3EEmmmmmmii ; -- Begin function _ZL18solve_tri_f32_fastILi64ELi12EEvPKfS1_Pf15HIP_vector_typeIjLj3EEmmmmmmii
	.p2align	8
	.type	_ZL18solve_tri_f32_fastILi64ELi12EEvPKfS1_Pf15HIP_vector_typeIjLj3EEmmmmmmii,@function
_ZL18solve_tri_f32_fastILi64ELi12EEvPKfS1_Pf15HIP_vector_typeIjLj3EEmmmmmmii: ; @_ZL18solve_tri_f32_fastILi64ELi12EEvPKfS1_Pf15HIP_vector_typeIjLj3EEmmmmmmii
; %bb.0:
	v_cmp_gt_u32_e32 vcc, 12, v1
	s_and_saveexec_b64 s[0:1], vcc
	s_cbranch_execz .LBB4_283
; %bb.1:
	s_load_dwordx4 s[0:3], s[4:5], 0x18
	s_load_dwordx2 s[16:17], s[4:5], 0x0
	s_load_dwordx8 s[8:15], s[4:5], 0x28
	s_waitcnt lgkmcnt(0)
	s_mul_hi_u32 s0, s0, s6
	s_add_i32 s0, s6, s0
	s_lshr_b32 s33, s0, s1
	s_mul_i32 s0, s33, s2
	s_sub_i32 s48, s6, s0
	s_mul_i32 s1, s9, s48
	s_mul_hi_u32 s2, s8, s48
	s_mul_i32 s0, s8, s48
	s_add_i32 s1, s2, s1
	s_lshl_b64 s[0:1], s[0:1], 2
	s_add_u32 s2, s16, s0
	s_load_dword s6, s[4:5], 0x6c
	s_addc_u32 s3, s17, s1
	s_mul_i32 s0, s11, s33
	s_mul_hi_u32 s1, s10, s33
	s_add_i32 s1, s1, s0
	s_mul_i32 s0, s10, s33
	s_lshl_b64 s[0:1], s[0:1], 2
	s_add_u32 s0, s2, s0
	s_addc_u32 s1, s3, s1
	s_waitcnt lgkmcnt(0)
	s_and_b32 s2, s6, 0xffff
	v_mad_u32_u24 v3, v1, s2, v0
	s_movk_i32 s2, 0x1000
	v_cmp_gt_u32_e32 vcc, s2, v3
	v_lshlrev_b32_e32 v2, 2, v3
	s_and_saveexec_b64 s[2:3], vcc
	s_cbranch_execz .LBB4_3
; %bb.2:
	global_load_dword v4, v2, s[0:1]
	s_waitcnt vmcnt(0)
	ds_write_b32 v2, v4
.LBB4_3:
	s_or_b64 exec, exec, s[2:3]
	s_movk_i32 s2, 0xe80
	v_cmp_gt_u32_e32 vcc, s2, v3
	s_and_saveexec_b64 s[2:3], vcc
	s_cbranch_execz .LBB4_5
; %bb.4:
	global_load_dword v4, v2, s[0:1] offset:1536
	s_waitcnt vmcnt(0)
	ds_write_b32 v2, v4 offset:1536
.LBB4_5:
	s_or_b64 exec, exec, s[2:3]
	s_movk_i32 s2, 0xd00
	v_cmp_gt_u32_e32 vcc, s2, v3
	s_and_saveexec_b64 s[2:3], vcc
	s_cbranch_execz .LBB4_7
; %bb.6:
	global_load_dword v4, v2, s[0:1] offset:3072
	s_waitcnt vmcnt(0)
	ds_write_b32 v2, v4 offset:3072
.LBB4_7:
	s_or_b64 exec, exec, s[2:3]
	s_movk_i32 s2, 0xb80
	v_cmp_gt_u32_e32 vcc, s2, v3
	s_and_saveexec_b64 s[2:3], vcc
	s_cbranch_execz .LBB4_9
; %bb.8:
	v_add_u32_e32 v4, 0x1200, v2
	global_load_dword v4, v4, s[0:1]
	s_waitcnt vmcnt(0)
	ds_write_b32 v2, v4 offset:4608
.LBB4_9:
	s_or_b64 exec, exec, s[2:3]
	s_movk_i32 s2, 0xa00
	v_cmp_gt_u32_e32 vcc, s2, v3
	s_and_saveexec_b64 s[2:3], vcc
	s_cbranch_execz .LBB4_11
; %bb.10:
	v_add_u32_e32 v4, 0x1800, v2
	global_load_dword v4, v4, s[0:1]
	s_waitcnt vmcnt(0)
	ds_write_b32 v2, v4 offset:6144
.LBB4_11:
	;; [unrolled: 11-line block ×5, first 2 shown]
	s_or_b64 exec, exec, s[2:3]
	s_load_dwordx4 s[44:47], s[4:5], 0x48
	s_movk_i32 s2, 0x400
	v_cmp_gt_u32_e32 vcc, s2, v3
	s_and_saveexec_b64 s[2:3], vcc
	s_cbranch_execz .LBB4_19
; %bb.18:
	v_or_b32_e32 v4, 0x3000, v2
	global_load_dword v4, v4, s[0:1]
	s_waitcnt vmcnt(0)
	ds_write_b32 v2, v4 offset:12288
.LBB4_19:
	s_or_b64 exec, exec, s[2:3]
	s_load_dwordx2 s[2:3], s[4:5], 0x8
	s_movk_i32 s6, 0x280
	v_cmp_gt_u32_e32 vcc, s6, v3
	s_and_saveexec_b64 s[6:7], vcc
	s_cbranch_execz .LBB4_21
; %bb.20:
	v_add_u32_e32 v4, 0x3600, v2
	global_load_dword v4, v4, s[0:1]
	s_waitcnt vmcnt(0)
	ds_write_b32 v2, v4 offset:13824
.LBB4_21:
	s_or_b64 exec, exec, s[6:7]
	s_movk_i32 s6, 0x100
	v_cmp_gt_u32_e32 vcc, s6, v3
	s_and_saveexec_b64 s[6:7], vcc
	s_cbranch_execz .LBB4_23
; %bb.22:
	v_or_b32_e32 v3, 0x3c00, v2
	global_load_dword v3, v3, s[0:1]
	s_waitcnt vmcnt(0)
	ds_write_b32 v2, v3 offset:15360
.LBB4_23:
	s_or_b64 exec, exec, s[6:7]
	s_mul_i32 s0, s13, s48
	s_mul_hi_u32 s1, s12, s48
	s_add_i32 s1, s1, s0
	s_mul_i32 s0, s12, s48
	s_mul_i32 s6, s15, s33
	s_mul_hi_u32 s7, s14, s33
	s_add_i32 s7, s7, s6
	s_lshl_b64 s[0:1], s[0:1], 2
	s_mul_i32 s6, s14, s33
	s_waitcnt lgkmcnt(0)
	s_add_u32 s2, s2, s0
	s_addc_u32 s3, s3, s1
	s_lshl_b64 s[0:1], s[6:7], 2
	s_add_u32 s0, s2, s0
	s_addc_u32 s1, s3, s1
	v_mov_b32_e32 v11, 0
	v_mul_u32_u24_e32 v2, 12, v0
	v_mov_b32_e32 v10, 0
	s_barrier
	v_cmp_gt_u32_e64 s[6:7], 64, v0
	s_mov_b64 s[2:3], exec
                                        ; implicit-def: $vgpr18 : SGPR spill to VGPR lane
	v_writelane_b32 v18, s6, 0
	v_writelane_b32 v18, s7, 1
	s_and_b64 s[6:7], s[2:3], s[6:7]
	s_mov_b64 exec, s[6:7]
	s_cbranch_execz .LBB4_25
; %bb.24:
	v_add_lshl_u32 v3, v2, v1, 2
	global_load_dword v10, v3, s[0:1]
.LBB4_25:
	s_or_b64 exec, exec, s[2:3]
	v_add_u32_e32 v3, 32, v0
	v_mul_u32_u24_e32 v3, 12, v3
	v_cmp_gt_u32_e64 s[6:7], 32, v0
	s_mov_b64 s[2:3], exec
	v_writelane_b32 v18, s6, 2
	v_writelane_b32 v18, s7, 3
	s_and_b64 s[6:7], s[2:3], s[6:7]
	s_mov_b64 exec, s[6:7]
	s_cbranch_execz .LBB4_27
; %bb.26:
	v_add_lshl_u32 v4, v3, v1, 2
	global_load_dword v11, v4, s[0:1]
.LBB4_27:
	s_or_b64 exec, exec, s[2:3]
	v_cmp_eq_u32_e64 s[6:7], 0, v0
	s_and_saveexec_b64 s[0:1], s[6:7]
	s_cbranch_execz .LBB4_29
; %bb.28:
	v_mov_b32_e32 v4, 0
	ds_read_b32 v4, v4
	s_waitcnt vmcnt(0) lgkmcnt(0)
	v_div_scale_f32 v5, s[2:3], v4, v4, v10
	v_div_scale_f32 v6, vcc, v10, v4, v10
	v_rcp_f32_e32 v7, v5
	v_fma_f32 v8, -v5, v7, 1.0
	v_fmac_f32_e32 v7, v8, v7
	v_mul_f32_e32 v8, v6, v7
	v_fma_f32 v9, -v5, v8, v6
	v_fmac_f32_e32 v8, v9, v7
	v_fma_f32 v5, -v5, v8, v6
	v_div_fmas_f32 v5, v5, v7, v8
	v_div_fixup_f32 v10, v5, v4, v10
.LBB4_29:
	s_or_b64 exec, exec, s[0:1]
	v_lshlrev_b32_e32 v4, 2, v0
	v_mov_b32_e32 v7, 0
	s_and_saveexec_b64 s[0:1], s[6:7]
	s_cbranch_execz .LBB4_31
; %bb.30:
	ds_read_b32 v5, v4 offset:256
	s_waitcnt vmcnt(0) lgkmcnt(0)
	v_fma_f32 v7, v10, v5, 0
.LBB4_31:
	s_or_b64 exec, exec, s[0:1]
	v_mbcnt_lo_u32_b32 v5, -1, 0
	v_mbcnt_hi_u32_b32 v9, -1, v5
	v_and_b32_e32 v5, 0x60, v9
	v_add_u32_e32 v12, 32, v5
	v_xor_b32_e32 v5, 16, v9
	v_cmp_lt_i32_e32 vcc, v5, v12
	v_cndmask_b32_e32 v5, v9, v5, vcc
	v_lshlrev_b32_e32 v5, 2, v5
	ds_bpermute_b32 v8, v5, v7
	v_xor_b32_e32 v6, 8, v9
	v_cmp_lt_i32_e32 vcc, v6, v12
	v_cndmask_b32_e32 v6, v9, v6, vcc
	v_lshlrev_b32_e32 v6, 2, v6
	s_waitcnt lgkmcnt(0)
	v_add_f32_e32 v8, v7, v8
	ds_bpermute_b32 v13, v6, v8
	v_xor_b32_e32 v7, 4, v9
	v_cmp_lt_i32_e32 vcc, v7, v12
	v_cndmask_b32_e32 v7, v9, v7, vcc
	v_lshlrev_b32_e32 v7, 2, v7
	s_waitcnt lgkmcnt(0)
	v_add_f32_e32 v13, v8, v13
	;; [unrolled: 7-line block ×4, first 2 shown]
	ds_bpermute_b32 v13, v9, v12
	v_cmp_eq_u32_e64 s[72:73], 1, v0
	s_and_saveexec_b64 s[0:1], s[72:73]
	s_cbranch_execz .LBB4_33
; %bb.32:
	v_mov_b32_e32 v14, 0
	ds_read_b32 v14, v14 offset:260
	s_waitcnt lgkmcnt(1)
	v_add_f32_e32 v12, v12, v13
	s_waitcnt vmcnt(0)
	v_sub_f32_e32 v10, v10, v12
	s_waitcnt lgkmcnt(0)
	v_div_scale_f32 v12, s[2:3], v14, v14, v10
	v_div_scale_f32 v13, vcc, v10, v14, v10
	v_rcp_f32_e32 v15, v12
	v_fma_f32 v16, -v12, v15, 1.0
	v_fmac_f32_e32 v15, v16, v15
	v_mul_f32_e32 v16, v13, v15
	v_fma_f32 v17, -v12, v16, v13
	v_fmac_f32_e32 v16, v17, v15
	v_fma_f32 v12, -v12, v16, v13
	v_div_fmas_f32 v12, v12, v15, v16
	v_div_fixup_f32 v10, v12, v14, v10
.LBB4_33:
	s_or_b64 exec, exec, s[0:1]
	v_mov_b32_e32 v12, 0
	v_cmp_gt_u32_e64 s[2:3], 2, v0
	s_mov_b64 s[0:1], exec
	v_writelane_b32 v18, s2, 4
	v_writelane_b32 v18, s3, 5
	s_and_b64 s[2:3], s[0:1], s[2:3]
	s_mov_b64 exec, s[2:3]
	s_cbranch_execz .LBB4_35
; %bb.34:
	ds_read_b32 v12, v4 offset:512
	s_waitcnt vmcnt(0) lgkmcnt(0)
	v_fma_f32 v12, v10, v12, 0
.LBB4_35:
	s_or_b64 exec, exec, s[0:1]
	s_waitcnt lgkmcnt(0)
	ds_bpermute_b32 v13, v5, v12
	v_cmp_eq_u32_e64 s[74:75], 2, v0
	s_waitcnt lgkmcnt(0)
	v_add_f32_e32 v12, v12, v13
	ds_bpermute_b32 v13, v6, v12
	s_waitcnt lgkmcnt(0)
	v_add_f32_e32 v12, v12, v13
	ds_bpermute_b32 v13, v7, v12
	s_waitcnt lgkmcnt(0)
	v_add_f32_e32 v12, v12, v13
	ds_bpermute_b32 v13, v8, v12
	s_waitcnt lgkmcnt(0)
	v_add_f32_e32 v12, v12, v13
	ds_bpermute_b32 v13, v9, v12
	s_and_saveexec_b64 s[0:1], s[74:75]
	s_cbranch_execz .LBB4_37
; %bb.36:
	v_mov_b32_e32 v14, 0
	ds_read_b32 v14, v14 offset:520
	s_waitcnt lgkmcnt(1)
	v_add_f32_e32 v12, v12, v13
	s_waitcnt vmcnt(0)
	v_sub_f32_e32 v10, v10, v12
	s_waitcnt lgkmcnt(0)
	v_div_scale_f32 v12, s[2:3], v14, v14, v10
	v_div_scale_f32 v13, vcc, v10, v14, v10
	v_rcp_f32_e32 v15, v12
	v_fma_f32 v16, -v12, v15, 1.0
	v_fmac_f32_e32 v15, v16, v15
	v_mul_f32_e32 v16, v13, v15
	v_fma_f32 v17, -v12, v16, v13
	v_fmac_f32_e32 v16, v17, v15
	v_fma_f32 v12, -v12, v16, v13
	v_div_fmas_f32 v12, v12, v15, v16
	v_div_fixup_f32 v10, v12, v14, v10
.LBB4_37:
	s_or_b64 exec, exec, s[0:1]
	v_mov_b32_e32 v12, 0
	v_cmp_gt_u32_e64 s[2:3], 3, v0
	s_mov_b64 s[0:1], exec
	v_writelane_b32 v18, s2, 6
	v_writelane_b32 v18, s3, 7
	s_and_b64 s[2:3], s[0:1], s[2:3]
	s_mov_b64 exec, s[2:3]
	s_cbranch_execz .LBB4_39
; %bb.38:
	ds_read_b32 v12, v4 offset:768
	s_waitcnt vmcnt(0) lgkmcnt(0)
	v_fma_f32 v12, v10, v12, 0
.LBB4_39:
	s_or_b64 exec, exec, s[0:1]
	s_waitcnt lgkmcnt(0)
	ds_bpermute_b32 v13, v5, v12
	v_cmp_eq_u32_e64 s[76:77], 3, v0
	s_waitcnt lgkmcnt(0)
	v_add_f32_e32 v12, v12, v13
	ds_bpermute_b32 v13, v6, v12
	s_waitcnt lgkmcnt(0)
	v_add_f32_e32 v12, v12, v13
	ds_bpermute_b32 v13, v7, v12
	s_waitcnt lgkmcnt(0)
	v_add_f32_e32 v12, v12, v13
	ds_bpermute_b32 v13, v8, v12
	s_waitcnt lgkmcnt(0)
	v_add_f32_e32 v12, v12, v13
	ds_bpermute_b32 v13, v9, v12
	;; [unrolled: 52-line block ×18, first 2 shown]
	s_and_saveexec_b64 s[18:19], s[16:17]
	s_cbranch_execz .LBB4_105
; %bb.104:
	v_mov_b32_e32 v14, 0
	ds_read_b32 v14, v14 offset:4940
	s_waitcnt lgkmcnt(1)
	v_add_f32_e32 v12, v12, v13
	s_waitcnt vmcnt(0)
	v_sub_f32_e32 v10, v10, v12
	s_waitcnt lgkmcnt(0)
	v_div_scale_f32 v12, s[20:21], v14, v14, v10
	v_div_scale_f32 v13, vcc, v10, v14, v10
	v_rcp_f32_e32 v15, v12
	v_fma_f32 v16, -v12, v15, 1.0
	v_fmac_f32_e32 v15, v16, v15
	v_mul_f32_e32 v16, v13, v15
	v_fma_f32 v17, -v12, v16, v13
	v_fmac_f32_e32 v16, v17, v15
	v_fma_f32 v12, -v12, v16, v13
	v_div_fmas_f32 v12, v12, v15, v16
	v_div_fixup_f32 v10, v12, v14, v10
.LBB4_105:
	s_or_b64 exec, exec, s[18:19]
	v_cmp_gt_u32_e64 s[50:51], 20, v0
	v_mov_b32_e32 v12, 0
	s_and_saveexec_b64 s[18:19], s[50:51]
	s_cbranch_execz .LBB4_107
; %bb.106:
	ds_read_b32 v12, v4 offset:5120
	s_waitcnt vmcnt(0) lgkmcnt(0)
	v_fma_f32 v12, v10, v12, 0
.LBB4_107:
	s_or_b64 exec, exec, s[18:19]
	s_waitcnt lgkmcnt(0)
	ds_bpermute_b32 v13, v5, v12
	v_cmp_eq_u32_e64 s[18:19], 20, v0
	s_waitcnt lgkmcnt(0)
	v_add_f32_e32 v12, v12, v13
	ds_bpermute_b32 v13, v6, v12
	s_waitcnt lgkmcnt(0)
	v_add_f32_e32 v12, v12, v13
	ds_bpermute_b32 v13, v7, v12
	s_waitcnt lgkmcnt(0)
	v_add_f32_e32 v12, v12, v13
	ds_bpermute_b32 v13, v8, v12
	s_waitcnt lgkmcnt(0)
	v_add_f32_e32 v12, v12, v13
	ds_bpermute_b32 v13, v9, v12
	s_and_saveexec_b64 s[20:21], s[18:19]
	s_cbranch_execz .LBB4_109
; %bb.108:
	v_mov_b32_e32 v14, 0
	ds_read_b32 v14, v14 offset:5200
	s_waitcnt lgkmcnt(1)
	v_add_f32_e32 v12, v12, v13
	s_waitcnt vmcnt(0)
	v_sub_f32_e32 v10, v10, v12
	s_waitcnt lgkmcnt(0)
	v_div_scale_f32 v12, s[22:23], v14, v14, v10
	v_div_scale_f32 v13, vcc, v10, v14, v10
	v_rcp_f32_e32 v15, v12
	v_fma_f32 v16, -v12, v15, 1.0
	v_fmac_f32_e32 v15, v16, v15
	v_mul_f32_e32 v16, v13, v15
	v_fma_f32 v17, -v12, v16, v13
	v_fmac_f32_e32 v16, v17, v15
	v_fma_f32 v12, -v12, v16, v13
	v_div_fmas_f32 v12, v12, v15, v16
	v_div_fixup_f32 v10, v12, v14, v10
.LBB4_109:
	s_or_b64 exec, exec, s[20:21]
	v_cmp_gt_u32_e64 s[52:53], 21, v0
	v_mov_b32_e32 v12, 0
	s_and_saveexec_b64 s[20:21], s[52:53]
	s_cbranch_execz .LBB4_111
; %bb.110:
	ds_read_b32 v12, v4 offset:5376
	s_waitcnt vmcnt(0) lgkmcnt(0)
	v_fma_f32 v12, v10, v12, 0
.LBB4_111:
	s_or_b64 exec, exec, s[20:21]
	s_waitcnt lgkmcnt(0)
	ds_bpermute_b32 v13, v5, v12
	v_cmp_eq_u32_e64 s[20:21], 21, v0
	s_waitcnt lgkmcnt(0)
	v_add_f32_e32 v12, v12, v13
	ds_bpermute_b32 v13, v6, v12
	s_waitcnt lgkmcnt(0)
	v_add_f32_e32 v12, v12, v13
	ds_bpermute_b32 v13, v7, v12
	s_waitcnt lgkmcnt(0)
	v_add_f32_e32 v12, v12, v13
	ds_bpermute_b32 v13, v8, v12
	s_waitcnt lgkmcnt(0)
	v_add_f32_e32 v12, v12, v13
	ds_bpermute_b32 v13, v9, v12
	;; [unrolled: 48-line block ×11, first 2 shown]
	s_and_saveexec_b64 s[42:43], s[40:41]
	s_cbranch_execz .LBB4_149
; %bb.148:
	v_mov_b32_e32 v14, 0
	ds_read_b32 v14, v14 offset:7800
	s_waitcnt lgkmcnt(1)
	v_add_f32_e32 v12, v12, v13
	s_waitcnt vmcnt(0)
	v_sub_f32_e32 v10, v10, v12
	s_waitcnt lgkmcnt(0)
	v_div_scale_f32 v12, vcc, v14, v14, v10
	v_div_scale_f32 v13, vcc, v10, v14, v10
	v_rcp_f32_e32 v15, v12
	v_fma_f32 v16, -v12, v15, 1.0
	v_fmac_f32_e32 v15, v16, v15
	v_mul_f32_e32 v16, v13, v15
	v_fma_f32 v17, -v12, v16, v13
	v_fmac_f32_e32 v16, v17, v15
	v_fma_f32 v12, -v12, v16, v13
	v_div_fmas_f32 v12, v12, v15, v16
	v_div_fixup_f32 v10, v12, v14, v10
.LBB4_149:
	s_or_b64 exec, exec, s[42:43]
	v_mov_b32_e32 v12, 0
	v_cmp_gt_u32_e32 vcc, 31, v0
	s_mov_b64 s[42:43], exec
	v_writelane_b32 v18, vcc_lo, 40
	v_writelane_b32 v18, vcc_hi, 41
	s_and_b64 vcc, s[42:43], vcc
	s_mov_b64 exec, vcc
	s_cbranch_execz .LBB4_151
; %bb.150:
	ds_read_b32 v12, v4 offset:7936
	s_waitcnt vmcnt(0) lgkmcnt(0)
	v_fma_f32 v12, v10, v12, 0
.LBB4_151:
	s_or_b64 exec, exec, s[42:43]
	s_waitcnt lgkmcnt(0)
	ds_bpermute_b32 v13, v5, v12
	v_cmp_eq_u32_e32 vcc, 31, v0
	s_waitcnt lgkmcnt(0)
	v_add_f32_e32 v12, v12, v13
	ds_bpermute_b32 v13, v6, v12
	s_waitcnt lgkmcnt(0)
	v_add_f32_e32 v12, v12, v13
	ds_bpermute_b32 v13, v7, v12
	;; [unrolled: 3-line block ×4, first 2 shown]
	s_mov_b64 s[42:43], exec
	v_writelane_b32 v18, vcc_lo, 42
	v_writelane_b32 v18, vcc_hi, 43
	s_and_b64 vcc, s[42:43], vcc
	s_mov_b64 exec, vcc
	s_cbranch_execz .LBB4_153
; %bb.152:
	v_mov_b32_e32 v0, 0
	ds_read_b32 v0, v0 offset:8060
	s_waitcnt lgkmcnt(1)
	v_add_f32_e32 v12, v12, v13
	s_waitcnt vmcnt(0)
	v_sub_f32_e32 v10, v10, v12
	s_waitcnt lgkmcnt(0)
	v_div_scale_f32 v12, vcc, v0, v0, v10
	v_div_scale_f32 v13, vcc, v10, v0, v10
	v_rcp_f32_e32 v14, v12
	v_fma_f32 v15, -v12, v14, 1.0
	v_fmac_f32_e32 v14, v15, v14
	v_mul_f32_e32 v15, v13, v14
	v_fma_f32 v16, -v12, v15, v13
	v_fmac_f32_e32 v15, v16, v14
	v_fma_f32 v12, -v12, v15, v13
	v_div_fmas_f32 v12, v12, v14, v15
	v_div_fixup_f32 v10, v12, v0, v10
.LBB4_153:
	s_or_b64 exec, exec, s[42:43]
	ds_read_b32 v0, v4 offset:8192
	s_waitcnt vmcnt(0) lgkmcnt(0)
	v_mul_f32_e32 v12, v10, v0
	ds_bpermute_b32 v12, v5, v12
	s_waitcnt lgkmcnt(0)
	v_fmac_f32_e32 v12, v10, v0
	ds_bpermute_b32 v0, v6, v12
	s_waitcnt lgkmcnt(0)
	v_add_f32_e32 v0, v12, v0
	ds_bpermute_b32 v12, v7, v0
	s_waitcnt lgkmcnt(0)
	v_add_f32_e32 v0, v0, v12
	;; [unrolled: 3-line block ×3, first 2 shown]
	ds_bpermute_b32 v12, v9, v0
	s_and_saveexec_b64 s[42:43], s[6:7]
	s_cbranch_execz .LBB4_155
; %bb.154:
	v_mov_b32_e32 v13, 0
	ds_read_b32 v13, v13 offset:8320
	s_waitcnt lgkmcnt(1)
	v_add_f32_e32 v0, v0, v12
	v_sub_f32_e32 v0, v11, v0
	s_waitcnt lgkmcnt(0)
	v_div_scale_f32 v11, vcc, v13, v13, v0
	v_div_scale_f32 v12, vcc, v0, v13, v0
	v_rcp_f32_e32 v14, v11
	v_fma_f32 v15, -v11, v14, 1.0
	v_fmac_f32_e32 v14, v15, v14
	v_mul_f32_e32 v15, v12, v14
	v_fma_f32 v16, -v11, v15, v12
	v_fmac_f32_e32 v15, v16, v14
	v_fma_f32 v11, -v11, v15, v12
	v_div_fmas_f32 v11, v11, v14, v15
	v_div_fixup_f32 v11, v11, v13, v0
.LBB4_155:
	s_or_b64 exec, exec, s[42:43]
	ds_read_b32 v0, v4 offset:8448
	s_waitcnt lgkmcnt(0)
	v_mul_f32_e32 v0, v10, v0
	s_and_saveexec_b64 s[42:43], s[6:7]
	s_cbranch_execz .LBB4_157
; %bb.156:
	ds_read_b32 v12, v4 offset:8576
	s_waitcnt lgkmcnt(0)
	v_fmac_f32_e32 v0, v11, v12
.LBB4_157:
	s_or_b64 exec, exec, s[42:43]
	ds_bpermute_b32 v12, v5, v0
	s_waitcnt lgkmcnt(0)
	v_add_f32_e32 v0, v0, v12
	ds_bpermute_b32 v12, v6, v0
	s_waitcnt lgkmcnt(0)
	v_add_f32_e32 v0, v0, v12
	ds_bpermute_b32 v12, v7, v0
	s_waitcnt lgkmcnt(0)
	v_add_f32_e32 v0, v0, v12
	ds_bpermute_b32 v12, v8, v0
	s_waitcnt lgkmcnt(0)
	v_add_f32_e32 v0, v0, v12
	ds_bpermute_b32 v12, v9, v0
	s_and_saveexec_b64 s[6:7], s[72:73]
	s_cbranch_execz .LBB4_159
; %bb.158:
	v_mov_b32_e32 v13, 0
	ds_read_b32 v13, v13 offset:8580
	s_waitcnt lgkmcnt(1)
	v_add_f32_e32 v0, v0, v12
	v_sub_f32_e32 v0, v11, v0
	s_waitcnt lgkmcnt(0)
	v_div_scale_f32 v11, s[42:43], v13, v13, v0
	v_div_scale_f32 v12, vcc, v0, v13, v0
	v_rcp_f32_e32 v14, v11
	v_fma_f32 v15, -v11, v14, 1.0
	v_fmac_f32_e32 v14, v15, v14
	v_mul_f32_e32 v15, v12, v14
	v_fma_f32 v16, -v11, v15, v12
	v_fmac_f32_e32 v15, v16, v14
	v_fma_f32 v11, -v11, v15, v12
	v_div_fmas_f32 v11, v11, v14, v15
	v_div_fixup_f32 v11, v11, v13, v0
.LBB4_159:
	s_or_b64 exec, exec, s[6:7]
	ds_read_b32 v0, v4 offset:8704
	s_waitcnt lgkmcnt(0)
	v_mul_f32_e32 v0, v10, v0
	s_mov_b64 s[6:7], exec
	v_readlane_b32 s42, v18, 4
	v_readlane_b32 s43, v18, 5
	s_and_b64 s[42:43], s[6:7], s[42:43]
	s_mov_b64 exec, s[42:43]
	s_cbranch_execz .LBB4_161
; %bb.160:
	ds_read_b32 v12, v4 offset:8832
	s_waitcnt lgkmcnt(0)
	v_fmac_f32_e32 v0, v11, v12
.LBB4_161:
	s_or_b64 exec, exec, s[6:7]
	ds_bpermute_b32 v12, v5, v0
	s_waitcnt lgkmcnt(0)
	v_add_f32_e32 v0, v0, v12
	ds_bpermute_b32 v12, v6, v0
	s_waitcnt lgkmcnt(0)
	v_add_f32_e32 v0, v0, v12
	ds_bpermute_b32 v12, v7, v0
	s_waitcnt lgkmcnt(0)
	v_add_f32_e32 v0, v0, v12
	ds_bpermute_b32 v12, v8, v0
	s_waitcnt lgkmcnt(0)
	v_add_f32_e32 v0, v0, v12
	ds_bpermute_b32 v12, v9, v0
	s_and_saveexec_b64 s[6:7], s[74:75]
	s_cbranch_execz .LBB4_163
; %bb.162:
	v_mov_b32_e32 v13, 0
	ds_read_b32 v13, v13 offset:8840
	s_waitcnt lgkmcnt(1)
	v_add_f32_e32 v0, v0, v12
	v_sub_f32_e32 v0, v11, v0
	s_waitcnt lgkmcnt(0)
	v_div_scale_f32 v11, s[42:43], v13, v13, v0
	v_div_scale_f32 v12, vcc, v0, v13, v0
	v_rcp_f32_e32 v14, v11
	v_fma_f32 v15, -v11, v14, 1.0
	v_fmac_f32_e32 v14, v15, v14
	v_mul_f32_e32 v15, v12, v14
	v_fma_f32 v16, -v11, v15, v12
	v_fmac_f32_e32 v15, v16, v14
	v_fma_f32 v11, -v11, v15, v12
	v_div_fmas_f32 v11, v11, v14, v15
	v_div_fixup_f32 v11, v11, v13, v0
.LBB4_163:
	s_or_b64 exec, exec, s[6:7]
	ds_read_b32 v0, v4 offset:8960
	s_waitcnt lgkmcnt(0)
	v_mul_f32_e32 v0, v10, v0
	s_mov_b64 s[6:7], exec
	v_readlane_b32 s42, v18, 6
	v_readlane_b32 s43, v18, 7
	s_and_b64 s[42:43], s[6:7], s[42:43]
	s_mov_b64 exec, s[42:43]
	;; [unrolled: 50-line block ×18, first 2 shown]
	s_cbranch_execz .LBB4_229
; %bb.228:
	ds_read_b32 v12, v4 offset:13184
	s_waitcnt lgkmcnt(0)
	v_fmac_f32_e32 v0, v11, v12
.LBB4_229:
	s_or_b64 exec, exec, s[0:1]
	ds_bpermute_b32 v12, v5, v0
	s_waitcnt lgkmcnt(0)
	v_add_f32_e32 v0, v0, v12
	ds_bpermute_b32 v12, v6, v0
	s_waitcnt lgkmcnt(0)
	v_add_f32_e32 v0, v0, v12
	ds_bpermute_b32 v12, v7, v0
	s_waitcnt lgkmcnt(0)
	v_add_f32_e32 v0, v0, v12
	ds_bpermute_b32 v12, v8, v0
	s_waitcnt lgkmcnt(0)
	v_add_f32_e32 v0, v0, v12
	ds_bpermute_b32 v12, v9, v0
	s_and_saveexec_b64 s[0:1], s[16:17]
	s_cbranch_execz .LBB4_231
; %bb.230:
	v_mov_b32_e32 v13, 0
	ds_read_b32 v13, v13 offset:13260
	s_waitcnt lgkmcnt(1)
	v_add_f32_e32 v0, v0, v12
	v_sub_f32_e32 v0, v11, v0
	s_waitcnt lgkmcnt(0)
	v_div_scale_f32 v11, s[2:3], v13, v13, v0
	v_div_scale_f32 v12, vcc, v0, v13, v0
	v_rcp_f32_e32 v14, v11
	v_fma_f32 v15, -v11, v14, 1.0
	v_fmac_f32_e32 v14, v15, v14
	v_mul_f32_e32 v15, v12, v14
	v_fma_f32 v16, -v11, v15, v12
	v_fmac_f32_e32 v15, v16, v14
	v_fma_f32 v11, -v11, v15, v12
	v_div_fmas_f32 v11, v11, v14, v15
	v_div_fixup_f32 v11, v11, v13, v0
.LBB4_231:
	s_or_b64 exec, exec, s[0:1]
	ds_read_b32 v0, v4 offset:13312
	s_waitcnt lgkmcnt(0)
	v_mul_f32_e32 v0, v10, v0
	s_and_saveexec_b64 s[0:1], s[50:51]
	s_cbranch_execz .LBB4_233
; %bb.232:
	ds_read_b32 v12, v4 offset:13440
	s_waitcnt lgkmcnt(0)
	v_fmac_f32_e32 v0, v11, v12
.LBB4_233:
	s_or_b64 exec, exec, s[0:1]
	ds_bpermute_b32 v12, v5, v0
	s_waitcnt lgkmcnt(0)
	v_add_f32_e32 v0, v0, v12
	ds_bpermute_b32 v12, v6, v0
	s_waitcnt lgkmcnt(0)
	v_add_f32_e32 v0, v0, v12
	ds_bpermute_b32 v12, v7, v0
	s_waitcnt lgkmcnt(0)
	v_add_f32_e32 v0, v0, v12
	ds_bpermute_b32 v12, v8, v0
	s_waitcnt lgkmcnt(0)
	v_add_f32_e32 v0, v0, v12
	ds_bpermute_b32 v12, v9, v0
	s_and_saveexec_b64 s[0:1], s[18:19]
	s_cbranch_execz .LBB4_235
; %bb.234:
	v_mov_b32_e32 v13, 0
	ds_read_b32 v13, v13 offset:13520
	s_waitcnt lgkmcnt(1)
	v_add_f32_e32 v0, v0, v12
	v_sub_f32_e32 v0, v11, v0
	s_waitcnt lgkmcnt(0)
	v_div_scale_f32 v11, s[2:3], v13, v13, v0
	v_div_scale_f32 v12, vcc, v0, v13, v0
	v_rcp_f32_e32 v14, v11
	v_fma_f32 v15, -v11, v14, 1.0
	v_fmac_f32_e32 v14, v15, v14
	v_mul_f32_e32 v15, v12, v14
	v_fma_f32 v16, -v11, v15, v12
	v_fmac_f32_e32 v15, v16, v14
	v_fma_f32 v11, -v11, v15, v12
	v_div_fmas_f32 v11, v11, v14, v15
	v_div_fixup_f32 v11, v11, v13, v0
.LBB4_235:
	s_or_b64 exec, exec, s[0:1]
	ds_read_b32 v0, v4 offset:13568
	s_waitcnt lgkmcnt(0)
	v_mul_f32_e32 v0, v10, v0
	s_and_saveexec_b64 s[0:1], s[52:53]
	;; [unrolled: 46-line block ×11, first 2 shown]
	s_cbranch_execz .LBB4_273
; %bb.272:
	ds_read_b32 v12, v4 offset:16000
	s_waitcnt lgkmcnt(0)
	v_fmac_f32_e32 v0, v11, v12
.LBB4_273:
	s_or_b64 exec, exec, s[0:1]
	ds_bpermute_b32 v12, v5, v0
	s_waitcnt lgkmcnt(0)
	v_add_f32_e32 v0, v0, v12
	ds_bpermute_b32 v12, v6, v0
	s_waitcnt lgkmcnt(0)
	v_add_f32_e32 v0, v0, v12
	;; [unrolled: 3-line block ×4, first 2 shown]
	ds_bpermute_b32 v12, v9, v0
	s_and_saveexec_b64 s[0:1], s[40:41]
	s_cbranch_execz .LBB4_275
; %bb.274:
	v_mov_b32_e32 v13, 0
	ds_read_b32 v13, v13 offset:16120
	s_waitcnt lgkmcnt(1)
	v_add_f32_e32 v0, v0, v12
	v_sub_f32_e32 v0, v11, v0
	s_waitcnt lgkmcnt(0)
	v_div_scale_f32 v11, s[2:3], v13, v13, v0
	v_div_scale_f32 v12, vcc, v0, v13, v0
	v_rcp_f32_e32 v14, v11
	v_fma_f32 v15, -v11, v14, 1.0
	v_fmac_f32_e32 v14, v15, v14
	v_mul_f32_e32 v15, v12, v14
	v_fma_f32 v16, -v11, v15, v12
	v_fmac_f32_e32 v15, v16, v14
	v_fma_f32 v11, -v11, v15, v12
	v_div_fmas_f32 v11, v11, v14, v15
	v_div_fixup_f32 v11, v11, v13, v0
.LBB4_275:
	s_or_b64 exec, exec, s[0:1]
	ds_read_b32 v0, v4 offset:16128
	s_load_dwordx2 s[0:1], s[4:5], 0x10
	s_waitcnt lgkmcnt(0)
	v_mul_f32_e32 v0, v10, v0
	s_mov_b64 s[2:3], exec
	v_readlane_b32 s4, v18, 40
	v_readlane_b32 s5, v18, 41
	s_and_b64 s[4:5], s[2:3], s[4:5]
	s_mov_b64 exec, s[4:5]
	s_cbranch_execz .LBB4_277
; %bb.276:
	ds_read_b32 v4, v4 offset:16256
	s_waitcnt lgkmcnt(0)
	v_fmac_f32_e32 v0, v11, v4
.LBB4_277:
	s_or_b64 exec, exec, s[2:3]
	ds_bpermute_b32 v4, v5, v0
	s_waitcnt lgkmcnt(0)
	v_add_f32_e32 v0, v0, v4
	ds_bpermute_b32 v4, v6, v0
	s_waitcnt lgkmcnt(0)
	v_add_f32_e32 v0, v0, v4
	ds_bpermute_b32 v4, v7, v0
	s_waitcnt lgkmcnt(0)
	v_add_f32_e32 v0, v0, v4
	ds_bpermute_b32 v4, v8, v0
	s_waitcnt lgkmcnt(0)
	v_add_f32_e32 v0, v0, v4
	ds_bpermute_b32 v4, v9, v0
	s_mov_b64 s[2:3], exec
	v_readlane_b32 s4, v18, 42
	v_readlane_b32 s5, v18, 43
	s_and_b64 s[4:5], s[2:3], s[4:5]
	s_mov_b64 exec, s[4:5]
	s_cbranch_execz .LBB4_279
; %bb.278:
	v_mov_b32_e32 v5, 0
	ds_read_b32 v5, v5 offset:16380
	s_waitcnt lgkmcnt(1)
	v_add_f32_e32 v0, v0, v4
	v_sub_f32_e32 v0, v11, v0
	s_waitcnt lgkmcnt(0)
	v_div_scale_f32 v4, s[4:5], v5, v5, v0
	v_div_scale_f32 v6, vcc, v0, v5, v0
	v_rcp_f32_e32 v7, v4
	v_fma_f32 v8, -v4, v7, 1.0
	v_fmac_f32_e32 v7, v8, v7
	v_mul_f32_e32 v8, v6, v7
	v_fma_f32 v9, -v4, v8, v6
	v_fmac_f32_e32 v8, v9, v7
	v_fma_f32 v4, -v4, v8, v6
	v_div_fmas_f32 v4, v4, v7, v8
	v_div_fixup_f32 v11, v4, v5, v0
.LBB4_279:
	s_or_b64 exec, exec, s[2:3]
	s_mul_i32 s2, s45, s48
	s_mul_hi_u32 s3, s44, s48
	s_add_i32 s3, s3, s2
	s_mul_i32 s2, s44, s48
	s_mul_i32 s4, s47, s33
	s_mul_hi_u32 s5, s46, s33
	s_add_i32 s5, s5, s4
	s_lshl_b64 s[2:3], s[2:3], 2
	s_mul_i32 s4, s46, s33
	s_add_u32 s2, s0, s2
	s_addc_u32 s3, s1, s3
	s_lshl_b64 s[0:1], s[4:5], 2
	s_add_u32 s0, s2, s0
	s_addc_u32 s1, s3, s1
	s_mov_b64 s[2:3], exec
	v_readlane_b32 s4, v18, 0
	v_readlane_b32 s5, v18, 1
	s_and_b64 s[4:5], s[2:3], s[4:5]
	s_mov_b64 exec, s[4:5]
	s_cbranch_execz .LBB4_281
; %bb.280:
	v_readlane_b32 s4, v18, 2
	v_readlane_b32 s5, v18, 3
	v_cndmask_b32_e64 v0, v11, v10, s[4:5]
	v_add_lshl_u32 v2, v2, v1, 2
	global_store_dword v2, v0, s[0:1]
.LBB4_281:
	s_or_b64 exec, exec, s[2:3]
	v_readlane_b32 s2, v18, 2
	v_readlane_b32 s3, v18, 3
	s_and_b64 exec, exec, s[2:3]
	s_cbranch_execz .LBB4_283
; %bb.282:
	v_add_lshl_u32 v0, v3, v1, 2
	global_store_dword v0, v11, s[0:1]
.LBB4_283:
	s_endpgm
	.section	.rodata,"a",@progbits
	.p2align	6, 0x0
	.amdhsa_kernel _ZL18solve_tri_f32_fastILi64ELi12EEvPKfS1_Pf15HIP_vector_typeIjLj3EEmmmmmmii
		.amdhsa_group_segment_fixed_size 16384
		.amdhsa_private_segment_fixed_size 0
		.amdhsa_kernarg_size 352
		.amdhsa_user_sgpr_count 6
		.amdhsa_user_sgpr_private_segment_buffer 1
		.amdhsa_user_sgpr_dispatch_ptr 0
		.amdhsa_user_sgpr_queue_ptr 0
		.amdhsa_user_sgpr_kernarg_segment_ptr 1
		.amdhsa_user_sgpr_dispatch_id 0
		.amdhsa_user_sgpr_flat_scratch_init 0
		.amdhsa_user_sgpr_private_segment_size 0
		.amdhsa_uses_dynamic_stack 0
		.amdhsa_system_sgpr_private_segment_wavefront_offset 0
		.amdhsa_system_sgpr_workgroup_id_x 1
		.amdhsa_system_sgpr_workgroup_id_y 0
		.amdhsa_system_sgpr_workgroup_id_z 0
		.amdhsa_system_sgpr_workgroup_info 0
		.amdhsa_system_vgpr_workitem_id 1
		.amdhsa_next_free_vgpr 29
		.amdhsa_next_free_sgpr 96
		.amdhsa_reserve_vcc 1
		.amdhsa_reserve_flat_scratch 0
		.amdhsa_float_round_mode_32 0
		.amdhsa_float_round_mode_16_64 0
		.amdhsa_float_denorm_mode_32 3
		.amdhsa_float_denorm_mode_16_64 3
		.amdhsa_dx10_clamp 1
		.amdhsa_ieee_mode 1
		.amdhsa_fp16_overflow 0
		.amdhsa_exception_fp_ieee_invalid_op 0
		.amdhsa_exception_fp_denorm_src 0
		.amdhsa_exception_fp_ieee_div_zero 0
		.amdhsa_exception_fp_ieee_overflow 0
		.amdhsa_exception_fp_ieee_underflow 0
		.amdhsa_exception_fp_ieee_inexact 0
		.amdhsa_exception_int_div_zero 0
	.end_amdhsa_kernel
	.section	.text._ZL18solve_tri_f32_fastILi64ELi12EEvPKfS1_Pf15HIP_vector_typeIjLj3EEmmmmmmii,"axG",@progbits,_ZL18solve_tri_f32_fastILi64ELi12EEvPKfS1_Pf15HIP_vector_typeIjLj3EEmmmmmmii,comdat
.Lfunc_end4:
	.size	_ZL18solve_tri_f32_fastILi64ELi12EEvPKfS1_Pf15HIP_vector_typeIjLj3EEmmmmmmii, .Lfunc_end4-_ZL18solve_tri_f32_fastILi64ELi12EEvPKfS1_Pf15HIP_vector_typeIjLj3EEmmmmmmii
                                        ; -- End function
	.set _ZL18solve_tri_f32_fastILi64ELi12EEvPKfS1_Pf15HIP_vector_typeIjLj3EEmmmmmmii.num_vgpr, 19
	.set _ZL18solve_tri_f32_fastILi64ELi12EEvPKfS1_Pf15HIP_vector_typeIjLj3EEmmmmmmii.num_agpr, 0
	.set _ZL18solve_tri_f32_fastILi64ELi12EEvPKfS1_Pf15HIP_vector_typeIjLj3EEmmmmmmii.numbered_sgpr, 96
	.set _ZL18solve_tri_f32_fastILi64ELi12EEvPKfS1_Pf15HIP_vector_typeIjLj3EEmmmmmmii.num_named_barrier, 0
	.set _ZL18solve_tri_f32_fastILi64ELi12EEvPKfS1_Pf15HIP_vector_typeIjLj3EEmmmmmmii.private_seg_size, 0
	.set _ZL18solve_tri_f32_fastILi64ELi12EEvPKfS1_Pf15HIP_vector_typeIjLj3EEmmmmmmii.uses_vcc, 1
	.set _ZL18solve_tri_f32_fastILi64ELi12EEvPKfS1_Pf15HIP_vector_typeIjLj3EEmmmmmmii.uses_flat_scratch, 0
	.set _ZL18solve_tri_f32_fastILi64ELi12EEvPKfS1_Pf15HIP_vector_typeIjLj3EEmmmmmmii.has_dyn_sized_stack, 0
	.set _ZL18solve_tri_f32_fastILi64ELi12EEvPKfS1_Pf15HIP_vector_typeIjLj3EEmmmmmmii.has_recursion, 0
	.set _ZL18solve_tri_f32_fastILi64ELi12EEvPKfS1_Pf15HIP_vector_typeIjLj3EEmmmmmmii.has_indirect_call, 0
	.section	.AMDGPU.csdata,"",@progbits
; Kernel info:
; codeLenInByte = 17048
; TotalNumSgprs: 100
; NumVgprs: 19
; ScratchSize: 0
; MemoryBound: 0
; FloatMode: 240
; IeeeMode: 1
; LDSByteSize: 16384 bytes/workgroup (compile time only)
; SGPRBlocks: 12
; VGPRBlocks: 7
; NumSGPRsForWavesPerEU: 100
; NumVGPRsForWavesPerEU: 29
; Occupancy: 8
; WaveLimiterHint : 0
; COMPUTE_PGM_RSRC2:SCRATCH_EN: 0
; COMPUTE_PGM_RSRC2:USER_SGPR: 6
; COMPUTE_PGM_RSRC2:TRAP_HANDLER: 0
; COMPUTE_PGM_RSRC2:TGID_X_EN: 1
; COMPUTE_PGM_RSRC2:TGID_Y_EN: 0
; COMPUTE_PGM_RSRC2:TGID_Z_EN: 0
; COMPUTE_PGM_RSRC2:TIDIG_COMP_CNT: 1
	.section	.text._ZL18solve_tri_f32_fastILi64ELi10EEvPKfS1_Pf15HIP_vector_typeIjLj3EEmmmmmmii,"axG",@progbits,_ZL18solve_tri_f32_fastILi64ELi10EEvPKfS1_Pf15HIP_vector_typeIjLj3EEmmmmmmii,comdat
	.globl	_ZL18solve_tri_f32_fastILi64ELi10EEvPKfS1_Pf15HIP_vector_typeIjLj3EEmmmmmmii ; -- Begin function _ZL18solve_tri_f32_fastILi64ELi10EEvPKfS1_Pf15HIP_vector_typeIjLj3EEmmmmmmii
	.p2align	8
	.type	_ZL18solve_tri_f32_fastILi64ELi10EEvPKfS1_Pf15HIP_vector_typeIjLj3EEmmmmmmii,@function
_ZL18solve_tri_f32_fastILi64ELi10EEvPKfS1_Pf15HIP_vector_typeIjLj3EEmmmmmmii: ; @_ZL18solve_tri_f32_fastILi64ELi10EEvPKfS1_Pf15HIP_vector_typeIjLj3EEmmmmmmii
; %bb.0:
	v_cmp_gt_u32_e32 vcc, 10, v1
	s_and_saveexec_b64 s[0:1], vcc
	s_cbranch_execz .LBB5_287
; %bb.1:
	s_load_dwordx4 s[0:3], s[4:5], 0x18
	s_load_dwordx2 s[16:17], s[4:5], 0x0
	s_load_dwordx8 s[8:15], s[4:5], 0x28
	s_waitcnt lgkmcnt(0)
	s_mul_hi_u32 s0, s0, s6
	s_add_i32 s0, s6, s0
	s_lshr_b32 s33, s0, s1
	s_mul_i32 s0, s33, s2
	s_sub_i32 s48, s6, s0
	s_mul_i32 s1, s9, s48
	s_mul_hi_u32 s2, s8, s48
	s_mul_i32 s0, s8, s48
	s_add_i32 s1, s2, s1
	s_lshl_b64 s[0:1], s[0:1], 2
	s_add_u32 s2, s16, s0
	s_load_dword s6, s[4:5], 0x6c
	s_addc_u32 s3, s17, s1
	s_mul_i32 s0, s11, s33
	s_mul_hi_u32 s1, s10, s33
	s_add_i32 s1, s1, s0
	s_mul_i32 s0, s10, s33
	s_lshl_b64 s[0:1], s[0:1], 2
	s_add_u32 s0, s2, s0
	s_addc_u32 s1, s3, s1
	s_waitcnt lgkmcnt(0)
	s_and_b32 s2, s6, 0xffff
	v_mad_u32_u24 v3, v1, s2, v0
	s_movk_i32 s2, 0x1000
	v_cmp_gt_u32_e32 vcc, s2, v3
	v_lshlrev_b32_e32 v2, 2, v3
	s_and_saveexec_b64 s[2:3], vcc
	s_cbranch_execz .LBB5_3
; %bb.2:
	global_load_dword v4, v2, s[0:1]
	s_waitcnt vmcnt(0)
	ds_write_b32 v2, v4
.LBB5_3:
	s_or_b64 exec, exec, s[2:3]
	s_movk_i32 s2, 0xec0
	v_cmp_gt_u32_e32 vcc, s2, v3
	s_and_saveexec_b64 s[2:3], vcc
	s_cbranch_execz .LBB5_5
; %bb.4:
	global_load_dword v4, v2, s[0:1] offset:1280
	s_waitcnt vmcnt(0)
	ds_write_b32 v2, v4 offset:1280
.LBB5_5:
	s_or_b64 exec, exec, s[2:3]
	s_movk_i32 s2, 0xd80
	v_cmp_gt_u32_e32 vcc, s2, v3
	s_and_saveexec_b64 s[2:3], vcc
	s_cbranch_execz .LBB5_7
; %bb.6:
	global_load_dword v4, v2, s[0:1] offset:2560
	s_waitcnt vmcnt(0)
	ds_write_b32 v2, v4 offset:2560
.LBB5_7:
	;; [unrolled: 10-line block ×3, first 2 shown]
	s_or_b64 exec, exec, s[2:3]
	s_movk_i32 s2, 0xb00
	v_cmp_gt_u32_e32 vcc, s2, v3
	s_and_saveexec_b64 s[2:3], vcc
	s_cbranch_execz .LBB5_11
; %bb.10:
	v_add_u32_e32 v4, 0x1400, v2
	global_load_dword v4, v4, s[0:1]
	s_waitcnt vmcnt(0)
	ds_write_b32 v2, v4 offset:5120
.LBB5_11:
	s_or_b64 exec, exec, s[2:3]
	s_movk_i32 s2, 0x9c0
	v_cmp_gt_u32_e32 vcc, s2, v3
	s_and_saveexec_b64 s[2:3], vcc
	s_cbranch_execz .LBB5_13
; %bb.12:
	v_add_u32_e32 v4, 0x1900, v2
	global_load_dword v4, v4, s[0:1]
	s_waitcnt vmcnt(0)
	ds_write_b32 v2, v4 offset:6400
.LBB5_13:
	;; [unrolled: 11-line block ×6, first 2 shown]
	s_or_b64 exec, exec, s[2:3]
	s_load_dwordx4 s[44:47], s[4:5], 0x48
	s_movk_i32 s2, 0x380
	v_cmp_gt_u32_e32 vcc, s2, v3
	s_and_saveexec_b64 s[2:3], vcc
	s_cbranch_execz .LBB5_23
; %bb.22:
	v_add_u32_e32 v4, 0x3200, v2
	global_load_dword v4, v4, s[0:1]
	s_waitcnt vmcnt(0)
	ds_write_b32 v2, v4 offset:12800
.LBB5_23:
	s_or_b64 exec, exec, s[2:3]
	s_load_dwordx2 s[2:3], s[4:5], 0x8
	s_movk_i32 s6, 0x240
	v_cmp_gt_u32_e32 vcc, s6, v3
	s_and_saveexec_b64 s[6:7], vcc
	s_cbranch_execz .LBB5_25
; %bb.24:
	v_add_u32_e32 v4, 0x3700, v2
	global_load_dword v4, v4, s[0:1]
	s_waitcnt vmcnt(0)
	ds_write_b32 v2, v4 offset:14080
.LBB5_25:
	s_or_b64 exec, exec, s[6:7]
	s_movk_i32 s6, 0x100
	v_cmp_gt_u32_e32 vcc, s6, v3
	s_and_saveexec_b64 s[6:7], vcc
	s_cbranch_execz .LBB5_27
; %bb.26:
	v_or_b32_e32 v3, 0x3c00, v2
	global_load_dword v3, v3, s[0:1]
	s_waitcnt vmcnt(0)
	ds_write_b32 v2, v3 offset:15360
.LBB5_27:
	s_or_b64 exec, exec, s[6:7]
	s_mul_i32 s0, s13, s48
	s_mul_hi_u32 s1, s12, s48
	s_add_i32 s1, s1, s0
	s_mul_i32 s0, s12, s48
	s_mul_i32 s6, s15, s33
	s_mul_hi_u32 s7, s14, s33
	s_add_i32 s7, s7, s6
	s_lshl_b64 s[0:1], s[0:1], 2
	s_mul_i32 s6, s14, s33
	s_waitcnt lgkmcnt(0)
	s_add_u32 s2, s2, s0
	s_addc_u32 s3, s3, s1
	s_lshl_b64 s[0:1], s[6:7], 2
	s_add_u32 s0, s2, s0
	s_addc_u32 s1, s3, s1
	v_mov_b32_e32 v11, 0
	v_mul_u32_u24_e32 v2, 10, v0
	v_mov_b32_e32 v10, 0
	s_barrier
	v_cmp_gt_u32_e64 s[6:7], 64, v0
	s_mov_b64 s[2:3], exec
                                        ; implicit-def: $vgpr18 : SGPR spill to VGPR lane
	v_writelane_b32 v18, s6, 0
	v_writelane_b32 v18, s7, 1
	s_and_b64 s[6:7], s[2:3], s[6:7]
	s_mov_b64 exec, s[6:7]
	s_cbranch_execz .LBB5_29
; %bb.28:
	v_add_lshl_u32 v3, v2, v1, 2
	global_load_dword v10, v3, s[0:1]
.LBB5_29:
	s_or_b64 exec, exec, s[2:3]
	v_add_u32_e32 v3, 32, v0
	v_mul_u32_u24_e32 v3, 10, v3
	v_cmp_gt_u32_e64 s[6:7], 32, v0
	s_mov_b64 s[2:3], exec
	v_writelane_b32 v18, s6, 2
	v_writelane_b32 v18, s7, 3
	s_and_b64 s[6:7], s[2:3], s[6:7]
	s_mov_b64 exec, s[6:7]
	s_cbranch_execz .LBB5_31
; %bb.30:
	v_add_lshl_u32 v4, v3, v1, 2
	global_load_dword v11, v4, s[0:1]
.LBB5_31:
	s_or_b64 exec, exec, s[2:3]
	v_cmp_eq_u32_e64 s[6:7], 0, v0
	s_and_saveexec_b64 s[0:1], s[6:7]
	s_cbranch_execz .LBB5_33
; %bb.32:
	v_mov_b32_e32 v4, 0
	ds_read_b32 v4, v4
	s_waitcnt vmcnt(0) lgkmcnt(0)
	v_div_scale_f32 v5, s[2:3], v4, v4, v10
	v_div_scale_f32 v6, vcc, v10, v4, v10
	v_rcp_f32_e32 v7, v5
	v_fma_f32 v8, -v5, v7, 1.0
	v_fmac_f32_e32 v7, v8, v7
	v_mul_f32_e32 v8, v6, v7
	v_fma_f32 v9, -v5, v8, v6
	v_fmac_f32_e32 v8, v9, v7
	v_fma_f32 v5, -v5, v8, v6
	v_div_fmas_f32 v5, v5, v7, v8
	v_div_fixup_f32 v10, v5, v4, v10
.LBB5_33:
	s_or_b64 exec, exec, s[0:1]
	v_lshlrev_b32_e32 v4, 2, v0
	v_mov_b32_e32 v7, 0
	s_and_saveexec_b64 s[0:1], s[6:7]
	s_cbranch_execz .LBB5_35
; %bb.34:
	ds_read_b32 v5, v4 offset:256
	s_waitcnt vmcnt(0) lgkmcnt(0)
	v_fma_f32 v7, v10, v5, 0
.LBB5_35:
	s_or_b64 exec, exec, s[0:1]
	v_mbcnt_lo_u32_b32 v5, -1, 0
	v_mbcnt_hi_u32_b32 v9, -1, v5
	v_and_b32_e32 v5, 0x60, v9
	v_add_u32_e32 v12, 32, v5
	v_xor_b32_e32 v5, 16, v9
	v_cmp_lt_i32_e32 vcc, v5, v12
	v_cndmask_b32_e32 v5, v9, v5, vcc
	v_lshlrev_b32_e32 v5, 2, v5
	ds_bpermute_b32 v8, v5, v7
	v_xor_b32_e32 v6, 8, v9
	v_cmp_lt_i32_e32 vcc, v6, v12
	v_cndmask_b32_e32 v6, v9, v6, vcc
	v_lshlrev_b32_e32 v6, 2, v6
	s_waitcnt lgkmcnt(0)
	v_add_f32_e32 v8, v7, v8
	ds_bpermute_b32 v13, v6, v8
	v_xor_b32_e32 v7, 4, v9
	v_cmp_lt_i32_e32 vcc, v7, v12
	v_cndmask_b32_e32 v7, v9, v7, vcc
	v_lshlrev_b32_e32 v7, 2, v7
	s_waitcnt lgkmcnt(0)
	v_add_f32_e32 v13, v8, v13
	;; [unrolled: 7-line block ×4, first 2 shown]
	ds_bpermute_b32 v13, v9, v12
	v_cmp_eq_u32_e64 s[72:73], 1, v0
	s_and_saveexec_b64 s[0:1], s[72:73]
	s_cbranch_execz .LBB5_37
; %bb.36:
	v_mov_b32_e32 v14, 0
	ds_read_b32 v14, v14 offset:260
	s_waitcnt lgkmcnt(1)
	v_add_f32_e32 v12, v12, v13
	s_waitcnt vmcnt(0)
	v_sub_f32_e32 v10, v10, v12
	s_waitcnt lgkmcnt(0)
	v_div_scale_f32 v12, s[2:3], v14, v14, v10
	v_div_scale_f32 v13, vcc, v10, v14, v10
	v_rcp_f32_e32 v15, v12
	v_fma_f32 v16, -v12, v15, 1.0
	v_fmac_f32_e32 v15, v16, v15
	v_mul_f32_e32 v16, v13, v15
	v_fma_f32 v17, -v12, v16, v13
	v_fmac_f32_e32 v16, v17, v15
	v_fma_f32 v12, -v12, v16, v13
	v_div_fmas_f32 v12, v12, v15, v16
	v_div_fixup_f32 v10, v12, v14, v10
.LBB5_37:
	s_or_b64 exec, exec, s[0:1]
	v_mov_b32_e32 v12, 0
	v_cmp_gt_u32_e64 s[2:3], 2, v0
	s_mov_b64 s[0:1], exec
	v_writelane_b32 v18, s2, 4
	v_writelane_b32 v18, s3, 5
	s_and_b64 s[2:3], s[0:1], s[2:3]
	s_mov_b64 exec, s[2:3]
	s_cbranch_execz .LBB5_39
; %bb.38:
	ds_read_b32 v12, v4 offset:512
	s_waitcnt vmcnt(0) lgkmcnt(0)
	v_fma_f32 v12, v10, v12, 0
.LBB5_39:
	s_or_b64 exec, exec, s[0:1]
	s_waitcnt lgkmcnt(0)
	ds_bpermute_b32 v13, v5, v12
	v_cmp_eq_u32_e64 s[74:75], 2, v0
	s_waitcnt lgkmcnt(0)
	v_add_f32_e32 v12, v12, v13
	ds_bpermute_b32 v13, v6, v12
	s_waitcnt lgkmcnt(0)
	v_add_f32_e32 v12, v12, v13
	ds_bpermute_b32 v13, v7, v12
	s_waitcnt lgkmcnt(0)
	v_add_f32_e32 v12, v12, v13
	ds_bpermute_b32 v13, v8, v12
	s_waitcnt lgkmcnt(0)
	v_add_f32_e32 v12, v12, v13
	ds_bpermute_b32 v13, v9, v12
	s_and_saveexec_b64 s[0:1], s[74:75]
	s_cbranch_execz .LBB5_41
; %bb.40:
	v_mov_b32_e32 v14, 0
	ds_read_b32 v14, v14 offset:520
	s_waitcnt lgkmcnt(1)
	v_add_f32_e32 v12, v12, v13
	s_waitcnt vmcnt(0)
	v_sub_f32_e32 v10, v10, v12
	s_waitcnt lgkmcnt(0)
	v_div_scale_f32 v12, s[2:3], v14, v14, v10
	v_div_scale_f32 v13, vcc, v10, v14, v10
	v_rcp_f32_e32 v15, v12
	v_fma_f32 v16, -v12, v15, 1.0
	v_fmac_f32_e32 v15, v16, v15
	v_mul_f32_e32 v16, v13, v15
	v_fma_f32 v17, -v12, v16, v13
	v_fmac_f32_e32 v16, v17, v15
	v_fma_f32 v12, -v12, v16, v13
	v_div_fmas_f32 v12, v12, v15, v16
	v_div_fixup_f32 v10, v12, v14, v10
.LBB5_41:
	s_or_b64 exec, exec, s[0:1]
	v_mov_b32_e32 v12, 0
	v_cmp_gt_u32_e64 s[2:3], 3, v0
	s_mov_b64 s[0:1], exec
	v_writelane_b32 v18, s2, 6
	v_writelane_b32 v18, s3, 7
	s_and_b64 s[2:3], s[0:1], s[2:3]
	s_mov_b64 exec, s[2:3]
	s_cbranch_execz .LBB5_43
; %bb.42:
	ds_read_b32 v12, v4 offset:768
	s_waitcnt vmcnt(0) lgkmcnt(0)
	v_fma_f32 v12, v10, v12, 0
.LBB5_43:
	s_or_b64 exec, exec, s[0:1]
	s_waitcnt lgkmcnt(0)
	ds_bpermute_b32 v13, v5, v12
	v_cmp_eq_u32_e64 s[76:77], 3, v0
	s_waitcnt lgkmcnt(0)
	v_add_f32_e32 v12, v12, v13
	ds_bpermute_b32 v13, v6, v12
	s_waitcnt lgkmcnt(0)
	v_add_f32_e32 v12, v12, v13
	ds_bpermute_b32 v13, v7, v12
	s_waitcnt lgkmcnt(0)
	v_add_f32_e32 v12, v12, v13
	ds_bpermute_b32 v13, v8, v12
	s_waitcnt lgkmcnt(0)
	v_add_f32_e32 v12, v12, v13
	ds_bpermute_b32 v13, v9, v12
	;; [unrolled: 52-line block ×18, first 2 shown]
	s_and_saveexec_b64 s[18:19], s[16:17]
	s_cbranch_execz .LBB5_109
; %bb.108:
	v_mov_b32_e32 v14, 0
	ds_read_b32 v14, v14 offset:4940
	s_waitcnt lgkmcnt(1)
	v_add_f32_e32 v12, v12, v13
	s_waitcnt vmcnt(0)
	v_sub_f32_e32 v10, v10, v12
	s_waitcnt lgkmcnt(0)
	v_div_scale_f32 v12, s[20:21], v14, v14, v10
	v_div_scale_f32 v13, vcc, v10, v14, v10
	v_rcp_f32_e32 v15, v12
	v_fma_f32 v16, -v12, v15, 1.0
	v_fmac_f32_e32 v15, v16, v15
	v_mul_f32_e32 v16, v13, v15
	v_fma_f32 v17, -v12, v16, v13
	v_fmac_f32_e32 v16, v17, v15
	v_fma_f32 v12, -v12, v16, v13
	v_div_fmas_f32 v12, v12, v15, v16
	v_div_fixup_f32 v10, v12, v14, v10
.LBB5_109:
	s_or_b64 exec, exec, s[18:19]
	v_cmp_gt_u32_e64 s[50:51], 20, v0
	v_mov_b32_e32 v12, 0
	s_and_saveexec_b64 s[18:19], s[50:51]
	s_cbranch_execz .LBB5_111
; %bb.110:
	ds_read_b32 v12, v4 offset:5120
	s_waitcnt vmcnt(0) lgkmcnt(0)
	v_fma_f32 v12, v10, v12, 0
.LBB5_111:
	s_or_b64 exec, exec, s[18:19]
	s_waitcnt lgkmcnt(0)
	ds_bpermute_b32 v13, v5, v12
	v_cmp_eq_u32_e64 s[18:19], 20, v0
	s_waitcnt lgkmcnt(0)
	v_add_f32_e32 v12, v12, v13
	ds_bpermute_b32 v13, v6, v12
	s_waitcnt lgkmcnt(0)
	v_add_f32_e32 v12, v12, v13
	ds_bpermute_b32 v13, v7, v12
	s_waitcnt lgkmcnt(0)
	v_add_f32_e32 v12, v12, v13
	ds_bpermute_b32 v13, v8, v12
	s_waitcnt lgkmcnt(0)
	v_add_f32_e32 v12, v12, v13
	ds_bpermute_b32 v13, v9, v12
	s_and_saveexec_b64 s[20:21], s[18:19]
	s_cbranch_execz .LBB5_113
; %bb.112:
	v_mov_b32_e32 v14, 0
	ds_read_b32 v14, v14 offset:5200
	s_waitcnt lgkmcnt(1)
	v_add_f32_e32 v12, v12, v13
	s_waitcnt vmcnt(0)
	v_sub_f32_e32 v10, v10, v12
	s_waitcnt lgkmcnt(0)
	v_div_scale_f32 v12, s[22:23], v14, v14, v10
	v_div_scale_f32 v13, vcc, v10, v14, v10
	v_rcp_f32_e32 v15, v12
	v_fma_f32 v16, -v12, v15, 1.0
	v_fmac_f32_e32 v15, v16, v15
	v_mul_f32_e32 v16, v13, v15
	v_fma_f32 v17, -v12, v16, v13
	v_fmac_f32_e32 v16, v17, v15
	v_fma_f32 v12, -v12, v16, v13
	v_div_fmas_f32 v12, v12, v15, v16
	v_div_fixup_f32 v10, v12, v14, v10
.LBB5_113:
	s_or_b64 exec, exec, s[20:21]
	v_cmp_gt_u32_e64 s[52:53], 21, v0
	v_mov_b32_e32 v12, 0
	s_and_saveexec_b64 s[20:21], s[52:53]
	s_cbranch_execz .LBB5_115
; %bb.114:
	ds_read_b32 v12, v4 offset:5376
	s_waitcnt vmcnt(0) lgkmcnt(0)
	v_fma_f32 v12, v10, v12, 0
.LBB5_115:
	s_or_b64 exec, exec, s[20:21]
	s_waitcnt lgkmcnt(0)
	ds_bpermute_b32 v13, v5, v12
	v_cmp_eq_u32_e64 s[20:21], 21, v0
	s_waitcnt lgkmcnt(0)
	v_add_f32_e32 v12, v12, v13
	ds_bpermute_b32 v13, v6, v12
	s_waitcnt lgkmcnt(0)
	v_add_f32_e32 v12, v12, v13
	ds_bpermute_b32 v13, v7, v12
	s_waitcnt lgkmcnt(0)
	v_add_f32_e32 v12, v12, v13
	ds_bpermute_b32 v13, v8, v12
	s_waitcnt lgkmcnt(0)
	v_add_f32_e32 v12, v12, v13
	ds_bpermute_b32 v13, v9, v12
	s_and_saveexec_b64 s[22:23], s[20:21]
	s_cbranch_execz .LBB5_117
; %bb.116:
	v_mov_b32_e32 v14, 0
	ds_read_b32 v14, v14 offset:5460
	s_waitcnt lgkmcnt(1)
	v_add_f32_e32 v12, v12, v13
	s_waitcnt vmcnt(0)
	v_sub_f32_e32 v10, v10, v12
	s_waitcnt lgkmcnt(0)
	v_div_scale_f32 v12, s[24:25], v14, v14, v10
	v_div_scale_f32 v13, vcc, v10, v14, v10
	v_rcp_f32_e32 v15, v12
	v_fma_f32 v16, -v12, v15, 1.0
	v_fmac_f32_e32 v15, v16, v15
	v_mul_f32_e32 v16, v13, v15
	v_fma_f32 v17, -v12, v16, v13
	v_fmac_f32_e32 v16, v17, v15
	v_fma_f32 v12, -v12, v16, v13
	v_div_fmas_f32 v12, v12, v15, v16
	v_div_fixup_f32 v10, v12, v14, v10
.LBB5_117:
	s_or_b64 exec, exec, s[22:23]
	v_cmp_gt_u32_e64 s[54:55], 22, v0
	v_mov_b32_e32 v12, 0
	s_and_saveexec_b64 s[22:23], s[54:55]
	s_cbranch_execz .LBB5_119
; %bb.118:
	ds_read_b32 v12, v4 offset:5632
	s_waitcnt vmcnt(0) lgkmcnt(0)
	v_fma_f32 v12, v10, v12, 0
.LBB5_119:
	s_or_b64 exec, exec, s[22:23]
	s_waitcnt lgkmcnt(0)
	ds_bpermute_b32 v13, v5, v12
	v_cmp_eq_u32_e64 s[22:23], 22, v0
	s_waitcnt lgkmcnt(0)
	v_add_f32_e32 v12, v12, v13
	ds_bpermute_b32 v13, v6, v12
	s_waitcnt lgkmcnt(0)
	v_add_f32_e32 v12, v12, v13
	ds_bpermute_b32 v13, v7, v12
	s_waitcnt lgkmcnt(0)
	v_add_f32_e32 v12, v12, v13
	ds_bpermute_b32 v13, v8, v12
	s_waitcnt lgkmcnt(0)
	v_add_f32_e32 v12, v12, v13
	ds_bpermute_b32 v13, v9, v12
	s_and_saveexec_b64 s[24:25], s[22:23]
	s_cbranch_execz .LBB5_121
; %bb.120:
	v_mov_b32_e32 v14, 0
	ds_read_b32 v14, v14 offset:5720
	s_waitcnt lgkmcnt(1)
	v_add_f32_e32 v12, v12, v13
	s_waitcnt vmcnt(0)
	v_sub_f32_e32 v10, v10, v12
	s_waitcnt lgkmcnt(0)
	v_div_scale_f32 v12, s[26:27], v14, v14, v10
	v_div_scale_f32 v13, vcc, v10, v14, v10
	v_rcp_f32_e32 v15, v12
	v_fma_f32 v16, -v12, v15, 1.0
	v_fmac_f32_e32 v15, v16, v15
	v_mul_f32_e32 v16, v13, v15
	v_fma_f32 v17, -v12, v16, v13
	v_fmac_f32_e32 v16, v17, v15
	v_fma_f32 v12, -v12, v16, v13
	v_div_fmas_f32 v12, v12, v15, v16
	v_div_fixup_f32 v10, v12, v14, v10
.LBB5_121:
	s_or_b64 exec, exec, s[24:25]
	v_cmp_gt_u32_e64 s[56:57], 23, v0
	v_mov_b32_e32 v12, 0
	s_and_saveexec_b64 s[24:25], s[56:57]
	s_cbranch_execz .LBB5_123
; %bb.122:
	ds_read_b32 v12, v4 offset:5888
	s_waitcnt vmcnt(0) lgkmcnt(0)
	v_fma_f32 v12, v10, v12, 0
.LBB5_123:
	s_or_b64 exec, exec, s[24:25]
	s_waitcnt lgkmcnt(0)
	ds_bpermute_b32 v13, v5, v12
	v_cmp_eq_u32_e64 s[24:25], 23, v0
	s_waitcnt lgkmcnt(0)
	v_add_f32_e32 v12, v12, v13
	ds_bpermute_b32 v13, v6, v12
	s_waitcnt lgkmcnt(0)
	v_add_f32_e32 v12, v12, v13
	ds_bpermute_b32 v13, v7, v12
	s_waitcnt lgkmcnt(0)
	v_add_f32_e32 v12, v12, v13
	ds_bpermute_b32 v13, v8, v12
	s_waitcnt lgkmcnt(0)
	v_add_f32_e32 v12, v12, v13
	ds_bpermute_b32 v13, v9, v12
	s_and_saveexec_b64 s[26:27], s[24:25]
	s_cbranch_execz .LBB5_125
; %bb.124:
	v_mov_b32_e32 v14, 0
	ds_read_b32 v14, v14 offset:5980
	s_waitcnt lgkmcnt(1)
	v_add_f32_e32 v12, v12, v13
	s_waitcnt vmcnt(0)
	v_sub_f32_e32 v10, v10, v12
	s_waitcnt lgkmcnt(0)
	v_div_scale_f32 v12, s[28:29], v14, v14, v10
	v_div_scale_f32 v13, vcc, v10, v14, v10
	v_rcp_f32_e32 v15, v12
	v_fma_f32 v16, -v12, v15, 1.0
	v_fmac_f32_e32 v15, v16, v15
	v_mul_f32_e32 v16, v13, v15
	v_fma_f32 v17, -v12, v16, v13
	v_fmac_f32_e32 v16, v17, v15
	v_fma_f32 v12, -v12, v16, v13
	v_div_fmas_f32 v12, v12, v15, v16
	v_div_fixup_f32 v10, v12, v14, v10
.LBB5_125:
	s_or_b64 exec, exec, s[26:27]
	v_cmp_gt_u32_e64 s[58:59], 24, v0
	v_mov_b32_e32 v12, 0
	s_and_saveexec_b64 s[26:27], s[58:59]
	s_cbranch_execz .LBB5_127
; %bb.126:
	ds_read_b32 v12, v4 offset:6144
	s_waitcnt vmcnt(0) lgkmcnt(0)
	v_fma_f32 v12, v10, v12, 0
.LBB5_127:
	s_or_b64 exec, exec, s[26:27]
	s_waitcnt lgkmcnt(0)
	ds_bpermute_b32 v13, v5, v12
	v_cmp_eq_u32_e64 s[26:27], 24, v0
	s_waitcnt lgkmcnt(0)
	v_add_f32_e32 v12, v12, v13
	ds_bpermute_b32 v13, v6, v12
	s_waitcnt lgkmcnt(0)
	v_add_f32_e32 v12, v12, v13
	ds_bpermute_b32 v13, v7, v12
	s_waitcnt lgkmcnt(0)
	v_add_f32_e32 v12, v12, v13
	ds_bpermute_b32 v13, v8, v12
	s_waitcnt lgkmcnt(0)
	v_add_f32_e32 v12, v12, v13
	ds_bpermute_b32 v13, v9, v12
	s_and_saveexec_b64 s[28:29], s[26:27]
	s_cbranch_execz .LBB5_129
; %bb.128:
	v_mov_b32_e32 v14, 0
	ds_read_b32 v14, v14 offset:6240
	s_waitcnt lgkmcnt(1)
	v_add_f32_e32 v12, v12, v13
	s_waitcnt vmcnt(0)
	v_sub_f32_e32 v10, v10, v12
	s_waitcnt lgkmcnt(0)
	v_div_scale_f32 v12, s[30:31], v14, v14, v10
	v_div_scale_f32 v13, vcc, v10, v14, v10
	v_rcp_f32_e32 v15, v12
	v_fma_f32 v16, -v12, v15, 1.0
	v_fmac_f32_e32 v15, v16, v15
	v_mul_f32_e32 v16, v13, v15
	v_fma_f32 v17, -v12, v16, v13
	v_fmac_f32_e32 v16, v17, v15
	v_fma_f32 v12, -v12, v16, v13
	v_div_fmas_f32 v12, v12, v15, v16
	v_div_fixup_f32 v10, v12, v14, v10
.LBB5_129:
	s_or_b64 exec, exec, s[28:29]
	v_cmp_gt_u32_e64 s[60:61], 25, v0
	v_mov_b32_e32 v12, 0
	s_and_saveexec_b64 s[28:29], s[60:61]
	s_cbranch_execz .LBB5_131
; %bb.130:
	ds_read_b32 v12, v4 offset:6400
	s_waitcnt vmcnt(0) lgkmcnt(0)
	v_fma_f32 v12, v10, v12, 0
.LBB5_131:
	s_or_b64 exec, exec, s[28:29]
	s_waitcnt lgkmcnt(0)
	ds_bpermute_b32 v13, v5, v12
	v_cmp_eq_u32_e64 s[28:29], 25, v0
	s_waitcnt lgkmcnt(0)
	v_add_f32_e32 v12, v12, v13
	ds_bpermute_b32 v13, v6, v12
	s_waitcnt lgkmcnt(0)
	v_add_f32_e32 v12, v12, v13
	ds_bpermute_b32 v13, v7, v12
	s_waitcnt lgkmcnt(0)
	v_add_f32_e32 v12, v12, v13
	ds_bpermute_b32 v13, v8, v12
	s_waitcnt lgkmcnt(0)
	v_add_f32_e32 v12, v12, v13
	ds_bpermute_b32 v13, v9, v12
	s_and_saveexec_b64 s[30:31], s[28:29]
	s_cbranch_execz .LBB5_133
; %bb.132:
	v_mov_b32_e32 v14, 0
	ds_read_b32 v14, v14 offset:6500
	s_waitcnt lgkmcnt(1)
	v_add_f32_e32 v12, v12, v13
	s_waitcnt vmcnt(0)
	v_sub_f32_e32 v10, v10, v12
	s_waitcnt lgkmcnt(0)
	v_div_scale_f32 v12, s[34:35], v14, v14, v10
	v_div_scale_f32 v13, vcc, v10, v14, v10
	v_rcp_f32_e32 v15, v12
	v_fma_f32 v16, -v12, v15, 1.0
	v_fmac_f32_e32 v15, v16, v15
	v_mul_f32_e32 v16, v13, v15
	v_fma_f32 v17, -v12, v16, v13
	v_fmac_f32_e32 v16, v17, v15
	v_fma_f32 v12, -v12, v16, v13
	v_div_fmas_f32 v12, v12, v15, v16
	v_div_fixup_f32 v10, v12, v14, v10
.LBB5_133:
	s_or_b64 exec, exec, s[30:31]
	v_cmp_gt_u32_e64 s[62:63], 26, v0
	v_mov_b32_e32 v12, 0
	s_and_saveexec_b64 s[30:31], s[62:63]
	s_cbranch_execz .LBB5_135
; %bb.134:
	ds_read_b32 v12, v4 offset:6656
	s_waitcnt vmcnt(0) lgkmcnt(0)
	v_fma_f32 v12, v10, v12, 0
.LBB5_135:
	s_or_b64 exec, exec, s[30:31]
	s_waitcnt lgkmcnt(0)
	ds_bpermute_b32 v13, v5, v12
	v_cmp_eq_u32_e64 s[30:31], 26, v0
	s_waitcnt lgkmcnt(0)
	v_add_f32_e32 v12, v12, v13
	ds_bpermute_b32 v13, v6, v12
	s_waitcnt lgkmcnt(0)
	v_add_f32_e32 v12, v12, v13
	ds_bpermute_b32 v13, v7, v12
	s_waitcnt lgkmcnt(0)
	v_add_f32_e32 v12, v12, v13
	ds_bpermute_b32 v13, v8, v12
	s_waitcnt lgkmcnt(0)
	v_add_f32_e32 v12, v12, v13
	ds_bpermute_b32 v13, v9, v12
	s_and_saveexec_b64 s[34:35], s[30:31]
	s_cbranch_execz .LBB5_137
; %bb.136:
	v_mov_b32_e32 v14, 0
	ds_read_b32 v14, v14 offset:6760
	s_waitcnt lgkmcnt(1)
	v_add_f32_e32 v12, v12, v13
	s_waitcnt vmcnt(0)
	v_sub_f32_e32 v10, v10, v12
	s_waitcnt lgkmcnt(0)
	v_div_scale_f32 v12, s[36:37], v14, v14, v10
	v_div_scale_f32 v13, vcc, v10, v14, v10
	v_rcp_f32_e32 v15, v12
	v_fma_f32 v16, -v12, v15, 1.0
	v_fmac_f32_e32 v15, v16, v15
	v_mul_f32_e32 v16, v13, v15
	v_fma_f32 v17, -v12, v16, v13
	v_fmac_f32_e32 v16, v17, v15
	v_fma_f32 v12, -v12, v16, v13
	v_div_fmas_f32 v12, v12, v15, v16
	v_div_fixup_f32 v10, v12, v14, v10
.LBB5_137:
	s_or_b64 exec, exec, s[34:35]
	v_cmp_gt_u32_e64 s[64:65], 27, v0
	v_mov_b32_e32 v12, 0
	s_and_saveexec_b64 s[34:35], s[64:65]
	s_cbranch_execz .LBB5_139
; %bb.138:
	ds_read_b32 v12, v4 offset:6912
	s_waitcnt vmcnt(0) lgkmcnt(0)
	v_fma_f32 v12, v10, v12, 0
.LBB5_139:
	s_or_b64 exec, exec, s[34:35]
	s_waitcnt lgkmcnt(0)
	ds_bpermute_b32 v13, v5, v12
	v_cmp_eq_u32_e64 s[34:35], 27, v0
	s_waitcnt lgkmcnt(0)
	v_add_f32_e32 v12, v12, v13
	ds_bpermute_b32 v13, v6, v12
	s_waitcnt lgkmcnt(0)
	v_add_f32_e32 v12, v12, v13
	ds_bpermute_b32 v13, v7, v12
	s_waitcnt lgkmcnt(0)
	v_add_f32_e32 v12, v12, v13
	ds_bpermute_b32 v13, v8, v12
	s_waitcnt lgkmcnt(0)
	v_add_f32_e32 v12, v12, v13
	ds_bpermute_b32 v13, v9, v12
	s_and_saveexec_b64 s[36:37], s[34:35]
	s_cbranch_execz .LBB5_141
; %bb.140:
	v_mov_b32_e32 v14, 0
	ds_read_b32 v14, v14 offset:7020
	s_waitcnt lgkmcnt(1)
	v_add_f32_e32 v12, v12, v13
	s_waitcnt vmcnt(0)
	v_sub_f32_e32 v10, v10, v12
	s_waitcnt lgkmcnt(0)
	v_div_scale_f32 v12, s[38:39], v14, v14, v10
	v_div_scale_f32 v13, vcc, v10, v14, v10
	v_rcp_f32_e32 v15, v12
	v_fma_f32 v16, -v12, v15, 1.0
	v_fmac_f32_e32 v15, v16, v15
	v_mul_f32_e32 v16, v13, v15
	v_fma_f32 v17, -v12, v16, v13
	v_fmac_f32_e32 v16, v17, v15
	v_fma_f32 v12, -v12, v16, v13
	v_div_fmas_f32 v12, v12, v15, v16
	v_div_fixup_f32 v10, v12, v14, v10
.LBB5_141:
	s_or_b64 exec, exec, s[36:37]
	v_cmp_gt_u32_e64 s[66:67], 28, v0
	v_mov_b32_e32 v12, 0
	s_and_saveexec_b64 s[36:37], s[66:67]
	s_cbranch_execz .LBB5_143
; %bb.142:
	ds_read_b32 v12, v4 offset:7168
	s_waitcnt vmcnt(0) lgkmcnt(0)
	v_fma_f32 v12, v10, v12, 0
.LBB5_143:
	s_or_b64 exec, exec, s[36:37]
	s_waitcnt lgkmcnt(0)
	ds_bpermute_b32 v13, v5, v12
	v_cmp_eq_u32_e64 s[36:37], 28, v0
	s_waitcnt lgkmcnt(0)
	v_add_f32_e32 v12, v12, v13
	ds_bpermute_b32 v13, v6, v12
	s_waitcnt lgkmcnt(0)
	v_add_f32_e32 v12, v12, v13
	ds_bpermute_b32 v13, v7, v12
	s_waitcnt lgkmcnt(0)
	v_add_f32_e32 v12, v12, v13
	ds_bpermute_b32 v13, v8, v12
	s_waitcnt lgkmcnt(0)
	v_add_f32_e32 v12, v12, v13
	ds_bpermute_b32 v13, v9, v12
	s_and_saveexec_b64 s[38:39], s[36:37]
	s_cbranch_execz .LBB5_145
; %bb.144:
	v_mov_b32_e32 v14, 0
	ds_read_b32 v14, v14 offset:7280
	s_waitcnt lgkmcnt(1)
	v_add_f32_e32 v12, v12, v13
	s_waitcnt vmcnt(0)
	v_sub_f32_e32 v10, v10, v12
	s_waitcnt lgkmcnt(0)
	v_div_scale_f32 v12, s[40:41], v14, v14, v10
	v_div_scale_f32 v13, vcc, v10, v14, v10
	v_rcp_f32_e32 v15, v12
	v_fma_f32 v16, -v12, v15, 1.0
	v_fmac_f32_e32 v15, v16, v15
	v_mul_f32_e32 v16, v13, v15
	v_fma_f32 v17, -v12, v16, v13
	v_fmac_f32_e32 v16, v17, v15
	v_fma_f32 v12, -v12, v16, v13
	v_div_fmas_f32 v12, v12, v15, v16
	v_div_fixup_f32 v10, v12, v14, v10
.LBB5_145:
	s_or_b64 exec, exec, s[38:39]
	v_cmp_gt_u32_e64 s[68:69], 29, v0
	v_mov_b32_e32 v12, 0
	s_and_saveexec_b64 s[38:39], s[68:69]
	s_cbranch_execz .LBB5_147
; %bb.146:
	ds_read_b32 v12, v4 offset:7424
	s_waitcnt vmcnt(0) lgkmcnt(0)
	v_fma_f32 v12, v10, v12, 0
.LBB5_147:
	s_or_b64 exec, exec, s[38:39]
	s_waitcnt lgkmcnt(0)
	ds_bpermute_b32 v13, v5, v12
	v_cmp_eq_u32_e64 s[38:39], 29, v0
	s_waitcnt lgkmcnt(0)
	v_add_f32_e32 v12, v12, v13
	ds_bpermute_b32 v13, v6, v12
	s_waitcnt lgkmcnt(0)
	v_add_f32_e32 v12, v12, v13
	ds_bpermute_b32 v13, v7, v12
	s_waitcnt lgkmcnt(0)
	v_add_f32_e32 v12, v12, v13
	ds_bpermute_b32 v13, v8, v12
	s_waitcnt lgkmcnt(0)
	v_add_f32_e32 v12, v12, v13
	ds_bpermute_b32 v13, v9, v12
	s_and_saveexec_b64 s[40:41], s[38:39]
	s_cbranch_execz .LBB5_149
; %bb.148:
	v_mov_b32_e32 v14, 0
	ds_read_b32 v14, v14 offset:7540
	s_waitcnt lgkmcnt(1)
	v_add_f32_e32 v12, v12, v13
	s_waitcnt vmcnt(0)
	v_sub_f32_e32 v10, v10, v12
	s_waitcnt lgkmcnt(0)
	v_div_scale_f32 v12, s[42:43], v14, v14, v10
	v_div_scale_f32 v13, vcc, v10, v14, v10
	v_rcp_f32_e32 v15, v12
	v_fma_f32 v16, -v12, v15, 1.0
	v_fmac_f32_e32 v15, v16, v15
	v_mul_f32_e32 v16, v13, v15
	v_fma_f32 v17, -v12, v16, v13
	v_fmac_f32_e32 v16, v17, v15
	v_fma_f32 v12, -v12, v16, v13
	v_div_fmas_f32 v12, v12, v15, v16
	v_div_fixup_f32 v10, v12, v14, v10
.LBB5_149:
	s_or_b64 exec, exec, s[40:41]
	v_cmp_gt_u32_e64 s[70:71], 30, v0
	v_mov_b32_e32 v12, 0
	s_and_saveexec_b64 s[40:41], s[70:71]
	s_cbranch_execz .LBB5_151
; %bb.150:
	ds_read_b32 v12, v4 offset:7680
	s_waitcnt vmcnt(0) lgkmcnt(0)
	v_fma_f32 v12, v10, v12, 0
.LBB5_151:
	s_or_b64 exec, exec, s[40:41]
	s_waitcnt lgkmcnt(0)
	ds_bpermute_b32 v13, v5, v12
	v_cmp_eq_u32_e64 s[40:41], 30, v0
	s_waitcnt lgkmcnt(0)
	v_add_f32_e32 v12, v12, v13
	ds_bpermute_b32 v13, v6, v12
	s_waitcnt lgkmcnt(0)
	v_add_f32_e32 v12, v12, v13
	ds_bpermute_b32 v13, v7, v12
	s_waitcnt lgkmcnt(0)
	v_add_f32_e32 v12, v12, v13
	ds_bpermute_b32 v13, v8, v12
	s_waitcnt lgkmcnt(0)
	v_add_f32_e32 v12, v12, v13
	ds_bpermute_b32 v13, v9, v12
	s_and_saveexec_b64 s[42:43], s[40:41]
	s_cbranch_execz .LBB5_153
; %bb.152:
	v_mov_b32_e32 v14, 0
	ds_read_b32 v14, v14 offset:7800
	s_waitcnt lgkmcnt(1)
	v_add_f32_e32 v12, v12, v13
	s_waitcnt vmcnt(0)
	v_sub_f32_e32 v10, v10, v12
	s_waitcnt lgkmcnt(0)
	v_div_scale_f32 v12, vcc, v14, v14, v10
	v_div_scale_f32 v13, vcc, v10, v14, v10
	v_rcp_f32_e32 v15, v12
	v_fma_f32 v16, -v12, v15, 1.0
	v_fmac_f32_e32 v15, v16, v15
	v_mul_f32_e32 v16, v13, v15
	v_fma_f32 v17, -v12, v16, v13
	v_fmac_f32_e32 v16, v17, v15
	v_fma_f32 v12, -v12, v16, v13
	v_div_fmas_f32 v12, v12, v15, v16
	v_div_fixup_f32 v10, v12, v14, v10
.LBB5_153:
	s_or_b64 exec, exec, s[42:43]
	v_mov_b32_e32 v12, 0
	v_cmp_gt_u32_e32 vcc, 31, v0
	s_mov_b64 s[42:43], exec
	v_writelane_b32 v18, vcc_lo, 40
	v_writelane_b32 v18, vcc_hi, 41
	s_and_b64 vcc, s[42:43], vcc
	s_mov_b64 exec, vcc
	s_cbranch_execz .LBB5_155
; %bb.154:
	ds_read_b32 v12, v4 offset:7936
	s_waitcnt vmcnt(0) lgkmcnt(0)
	v_fma_f32 v12, v10, v12, 0
.LBB5_155:
	s_or_b64 exec, exec, s[42:43]
	s_waitcnt lgkmcnt(0)
	ds_bpermute_b32 v13, v5, v12
	v_cmp_eq_u32_e32 vcc, 31, v0
	s_waitcnt lgkmcnt(0)
	v_add_f32_e32 v12, v12, v13
	ds_bpermute_b32 v13, v6, v12
	s_waitcnt lgkmcnt(0)
	v_add_f32_e32 v12, v12, v13
	ds_bpermute_b32 v13, v7, v12
	s_waitcnt lgkmcnt(0)
	v_add_f32_e32 v12, v12, v13
	ds_bpermute_b32 v13, v8, v12
	s_waitcnt lgkmcnt(0)
	v_add_f32_e32 v12, v12, v13
	ds_bpermute_b32 v13, v9, v12
	s_mov_b64 s[42:43], exec
	v_writelane_b32 v18, vcc_lo, 42
	v_writelane_b32 v18, vcc_hi, 43
	s_and_b64 vcc, s[42:43], vcc
	s_mov_b64 exec, vcc
	s_cbranch_execz .LBB5_157
; %bb.156:
	v_mov_b32_e32 v0, 0
	ds_read_b32 v0, v0 offset:8060
	s_waitcnt lgkmcnt(1)
	v_add_f32_e32 v12, v12, v13
	s_waitcnt vmcnt(0)
	v_sub_f32_e32 v10, v10, v12
	s_waitcnt lgkmcnt(0)
	v_div_scale_f32 v12, vcc, v0, v0, v10
	v_div_scale_f32 v13, vcc, v10, v0, v10
	v_rcp_f32_e32 v14, v12
	v_fma_f32 v15, -v12, v14, 1.0
	v_fmac_f32_e32 v14, v15, v14
	v_mul_f32_e32 v15, v13, v14
	v_fma_f32 v16, -v12, v15, v13
	v_fmac_f32_e32 v15, v16, v14
	v_fma_f32 v12, -v12, v15, v13
	v_div_fmas_f32 v12, v12, v14, v15
	v_div_fixup_f32 v10, v12, v0, v10
.LBB5_157:
	s_or_b64 exec, exec, s[42:43]
	ds_read_b32 v0, v4 offset:8192
	s_waitcnt vmcnt(0) lgkmcnt(0)
	v_mul_f32_e32 v12, v10, v0
	ds_bpermute_b32 v12, v5, v12
	s_waitcnt lgkmcnt(0)
	v_fmac_f32_e32 v12, v10, v0
	ds_bpermute_b32 v0, v6, v12
	s_waitcnt lgkmcnt(0)
	v_add_f32_e32 v0, v12, v0
	ds_bpermute_b32 v12, v7, v0
	s_waitcnt lgkmcnt(0)
	v_add_f32_e32 v0, v0, v12
	ds_bpermute_b32 v12, v8, v0
	s_waitcnt lgkmcnt(0)
	v_add_f32_e32 v0, v0, v12
	ds_bpermute_b32 v12, v9, v0
	s_and_saveexec_b64 s[42:43], s[6:7]
	s_cbranch_execz .LBB5_159
; %bb.158:
	v_mov_b32_e32 v13, 0
	ds_read_b32 v13, v13 offset:8320
	s_waitcnt lgkmcnt(1)
	v_add_f32_e32 v0, v0, v12
	v_sub_f32_e32 v0, v11, v0
	s_waitcnt lgkmcnt(0)
	v_div_scale_f32 v11, vcc, v13, v13, v0
	v_div_scale_f32 v12, vcc, v0, v13, v0
	v_rcp_f32_e32 v14, v11
	v_fma_f32 v15, -v11, v14, 1.0
	v_fmac_f32_e32 v14, v15, v14
	v_mul_f32_e32 v15, v12, v14
	v_fma_f32 v16, -v11, v15, v12
	v_fmac_f32_e32 v15, v16, v14
	v_fma_f32 v11, -v11, v15, v12
	v_div_fmas_f32 v11, v11, v14, v15
	v_div_fixup_f32 v11, v11, v13, v0
.LBB5_159:
	s_or_b64 exec, exec, s[42:43]
	ds_read_b32 v0, v4 offset:8448
	s_waitcnt lgkmcnt(0)
	v_mul_f32_e32 v0, v10, v0
	s_and_saveexec_b64 s[42:43], s[6:7]
	s_cbranch_execz .LBB5_161
; %bb.160:
	ds_read_b32 v12, v4 offset:8576
	s_waitcnt lgkmcnt(0)
	v_fmac_f32_e32 v0, v11, v12
.LBB5_161:
	s_or_b64 exec, exec, s[42:43]
	ds_bpermute_b32 v12, v5, v0
	s_waitcnt lgkmcnt(0)
	v_add_f32_e32 v0, v0, v12
	ds_bpermute_b32 v12, v6, v0
	s_waitcnt lgkmcnt(0)
	v_add_f32_e32 v0, v0, v12
	ds_bpermute_b32 v12, v7, v0
	s_waitcnt lgkmcnt(0)
	v_add_f32_e32 v0, v0, v12
	ds_bpermute_b32 v12, v8, v0
	s_waitcnt lgkmcnt(0)
	v_add_f32_e32 v0, v0, v12
	ds_bpermute_b32 v12, v9, v0
	s_and_saveexec_b64 s[6:7], s[72:73]
	s_cbranch_execz .LBB5_163
; %bb.162:
	v_mov_b32_e32 v13, 0
	ds_read_b32 v13, v13 offset:8580
	s_waitcnt lgkmcnt(1)
	v_add_f32_e32 v0, v0, v12
	v_sub_f32_e32 v0, v11, v0
	s_waitcnt lgkmcnt(0)
	v_div_scale_f32 v11, s[42:43], v13, v13, v0
	v_div_scale_f32 v12, vcc, v0, v13, v0
	v_rcp_f32_e32 v14, v11
	v_fma_f32 v15, -v11, v14, 1.0
	v_fmac_f32_e32 v14, v15, v14
	v_mul_f32_e32 v15, v12, v14
	v_fma_f32 v16, -v11, v15, v12
	v_fmac_f32_e32 v15, v16, v14
	v_fma_f32 v11, -v11, v15, v12
	v_div_fmas_f32 v11, v11, v14, v15
	v_div_fixup_f32 v11, v11, v13, v0
.LBB5_163:
	s_or_b64 exec, exec, s[6:7]
	ds_read_b32 v0, v4 offset:8704
	s_waitcnt lgkmcnt(0)
	v_mul_f32_e32 v0, v10, v0
	s_mov_b64 s[6:7], exec
	v_readlane_b32 s42, v18, 4
	v_readlane_b32 s43, v18, 5
	s_and_b64 s[42:43], s[6:7], s[42:43]
	s_mov_b64 exec, s[42:43]
	s_cbranch_execz .LBB5_165
; %bb.164:
	ds_read_b32 v12, v4 offset:8832
	s_waitcnt lgkmcnt(0)
	v_fmac_f32_e32 v0, v11, v12
.LBB5_165:
	s_or_b64 exec, exec, s[6:7]
	ds_bpermute_b32 v12, v5, v0
	s_waitcnt lgkmcnt(0)
	v_add_f32_e32 v0, v0, v12
	ds_bpermute_b32 v12, v6, v0
	s_waitcnt lgkmcnt(0)
	v_add_f32_e32 v0, v0, v12
	ds_bpermute_b32 v12, v7, v0
	s_waitcnt lgkmcnt(0)
	v_add_f32_e32 v0, v0, v12
	ds_bpermute_b32 v12, v8, v0
	s_waitcnt lgkmcnt(0)
	v_add_f32_e32 v0, v0, v12
	ds_bpermute_b32 v12, v9, v0
	s_and_saveexec_b64 s[6:7], s[74:75]
	s_cbranch_execz .LBB5_167
; %bb.166:
	v_mov_b32_e32 v13, 0
	ds_read_b32 v13, v13 offset:8840
	s_waitcnt lgkmcnt(1)
	v_add_f32_e32 v0, v0, v12
	v_sub_f32_e32 v0, v11, v0
	s_waitcnt lgkmcnt(0)
	v_div_scale_f32 v11, s[42:43], v13, v13, v0
	v_div_scale_f32 v12, vcc, v0, v13, v0
	v_rcp_f32_e32 v14, v11
	v_fma_f32 v15, -v11, v14, 1.0
	v_fmac_f32_e32 v14, v15, v14
	v_mul_f32_e32 v15, v12, v14
	v_fma_f32 v16, -v11, v15, v12
	v_fmac_f32_e32 v15, v16, v14
	v_fma_f32 v11, -v11, v15, v12
	v_div_fmas_f32 v11, v11, v14, v15
	v_div_fixup_f32 v11, v11, v13, v0
.LBB5_167:
	s_or_b64 exec, exec, s[6:7]
	ds_read_b32 v0, v4 offset:8960
	s_waitcnt lgkmcnt(0)
	v_mul_f32_e32 v0, v10, v0
	s_mov_b64 s[6:7], exec
	v_readlane_b32 s42, v18, 6
	v_readlane_b32 s43, v18, 7
	s_and_b64 s[42:43], s[6:7], s[42:43]
	s_mov_b64 exec, s[42:43]
	;; [unrolled: 50-line block ×18, first 2 shown]
	s_cbranch_execz .LBB5_233
; %bb.232:
	ds_read_b32 v12, v4 offset:13184
	s_waitcnt lgkmcnt(0)
	v_fmac_f32_e32 v0, v11, v12
.LBB5_233:
	s_or_b64 exec, exec, s[0:1]
	ds_bpermute_b32 v12, v5, v0
	s_waitcnt lgkmcnt(0)
	v_add_f32_e32 v0, v0, v12
	ds_bpermute_b32 v12, v6, v0
	s_waitcnt lgkmcnt(0)
	v_add_f32_e32 v0, v0, v12
	ds_bpermute_b32 v12, v7, v0
	s_waitcnt lgkmcnt(0)
	v_add_f32_e32 v0, v0, v12
	ds_bpermute_b32 v12, v8, v0
	s_waitcnt lgkmcnt(0)
	v_add_f32_e32 v0, v0, v12
	ds_bpermute_b32 v12, v9, v0
	s_and_saveexec_b64 s[0:1], s[16:17]
	s_cbranch_execz .LBB5_235
; %bb.234:
	v_mov_b32_e32 v13, 0
	ds_read_b32 v13, v13 offset:13260
	s_waitcnt lgkmcnt(1)
	v_add_f32_e32 v0, v0, v12
	v_sub_f32_e32 v0, v11, v0
	s_waitcnt lgkmcnt(0)
	v_div_scale_f32 v11, s[2:3], v13, v13, v0
	v_div_scale_f32 v12, vcc, v0, v13, v0
	v_rcp_f32_e32 v14, v11
	v_fma_f32 v15, -v11, v14, 1.0
	v_fmac_f32_e32 v14, v15, v14
	v_mul_f32_e32 v15, v12, v14
	v_fma_f32 v16, -v11, v15, v12
	v_fmac_f32_e32 v15, v16, v14
	v_fma_f32 v11, -v11, v15, v12
	v_div_fmas_f32 v11, v11, v14, v15
	v_div_fixup_f32 v11, v11, v13, v0
.LBB5_235:
	s_or_b64 exec, exec, s[0:1]
	ds_read_b32 v0, v4 offset:13312
	s_waitcnt lgkmcnt(0)
	v_mul_f32_e32 v0, v10, v0
	s_and_saveexec_b64 s[0:1], s[50:51]
	s_cbranch_execz .LBB5_237
; %bb.236:
	ds_read_b32 v12, v4 offset:13440
	s_waitcnt lgkmcnt(0)
	v_fmac_f32_e32 v0, v11, v12
.LBB5_237:
	s_or_b64 exec, exec, s[0:1]
	ds_bpermute_b32 v12, v5, v0
	s_waitcnt lgkmcnt(0)
	v_add_f32_e32 v0, v0, v12
	ds_bpermute_b32 v12, v6, v0
	s_waitcnt lgkmcnt(0)
	v_add_f32_e32 v0, v0, v12
	ds_bpermute_b32 v12, v7, v0
	s_waitcnt lgkmcnt(0)
	v_add_f32_e32 v0, v0, v12
	ds_bpermute_b32 v12, v8, v0
	s_waitcnt lgkmcnt(0)
	v_add_f32_e32 v0, v0, v12
	ds_bpermute_b32 v12, v9, v0
	s_and_saveexec_b64 s[0:1], s[18:19]
	s_cbranch_execz .LBB5_239
; %bb.238:
	v_mov_b32_e32 v13, 0
	ds_read_b32 v13, v13 offset:13520
	s_waitcnt lgkmcnt(1)
	v_add_f32_e32 v0, v0, v12
	v_sub_f32_e32 v0, v11, v0
	s_waitcnt lgkmcnt(0)
	v_div_scale_f32 v11, s[2:3], v13, v13, v0
	v_div_scale_f32 v12, vcc, v0, v13, v0
	v_rcp_f32_e32 v14, v11
	v_fma_f32 v15, -v11, v14, 1.0
	v_fmac_f32_e32 v14, v15, v14
	v_mul_f32_e32 v15, v12, v14
	v_fma_f32 v16, -v11, v15, v12
	v_fmac_f32_e32 v15, v16, v14
	v_fma_f32 v11, -v11, v15, v12
	v_div_fmas_f32 v11, v11, v14, v15
	v_div_fixup_f32 v11, v11, v13, v0
.LBB5_239:
	s_or_b64 exec, exec, s[0:1]
	ds_read_b32 v0, v4 offset:13568
	s_waitcnt lgkmcnt(0)
	v_mul_f32_e32 v0, v10, v0
	s_and_saveexec_b64 s[0:1], s[52:53]
	;; [unrolled: 46-line block ×11, first 2 shown]
	s_cbranch_execz .LBB5_277
; %bb.276:
	ds_read_b32 v12, v4 offset:16000
	s_waitcnt lgkmcnt(0)
	v_fmac_f32_e32 v0, v11, v12
.LBB5_277:
	s_or_b64 exec, exec, s[0:1]
	ds_bpermute_b32 v12, v5, v0
	s_waitcnt lgkmcnt(0)
	v_add_f32_e32 v0, v0, v12
	ds_bpermute_b32 v12, v6, v0
	s_waitcnt lgkmcnt(0)
	v_add_f32_e32 v0, v0, v12
	;; [unrolled: 3-line block ×4, first 2 shown]
	ds_bpermute_b32 v12, v9, v0
	s_and_saveexec_b64 s[0:1], s[40:41]
	s_cbranch_execz .LBB5_279
; %bb.278:
	v_mov_b32_e32 v13, 0
	ds_read_b32 v13, v13 offset:16120
	s_waitcnt lgkmcnt(1)
	v_add_f32_e32 v0, v0, v12
	v_sub_f32_e32 v0, v11, v0
	s_waitcnt lgkmcnt(0)
	v_div_scale_f32 v11, s[2:3], v13, v13, v0
	v_div_scale_f32 v12, vcc, v0, v13, v0
	v_rcp_f32_e32 v14, v11
	v_fma_f32 v15, -v11, v14, 1.0
	v_fmac_f32_e32 v14, v15, v14
	v_mul_f32_e32 v15, v12, v14
	v_fma_f32 v16, -v11, v15, v12
	v_fmac_f32_e32 v15, v16, v14
	v_fma_f32 v11, -v11, v15, v12
	v_div_fmas_f32 v11, v11, v14, v15
	v_div_fixup_f32 v11, v11, v13, v0
.LBB5_279:
	s_or_b64 exec, exec, s[0:1]
	ds_read_b32 v0, v4 offset:16128
	s_load_dwordx2 s[0:1], s[4:5], 0x10
	s_waitcnt lgkmcnt(0)
	v_mul_f32_e32 v0, v10, v0
	s_mov_b64 s[2:3], exec
	v_readlane_b32 s4, v18, 40
	v_readlane_b32 s5, v18, 41
	s_and_b64 s[4:5], s[2:3], s[4:5]
	s_mov_b64 exec, s[4:5]
	s_cbranch_execz .LBB5_281
; %bb.280:
	ds_read_b32 v4, v4 offset:16256
	s_waitcnt lgkmcnt(0)
	v_fmac_f32_e32 v0, v11, v4
.LBB5_281:
	s_or_b64 exec, exec, s[2:3]
	ds_bpermute_b32 v4, v5, v0
	s_waitcnt lgkmcnt(0)
	v_add_f32_e32 v0, v0, v4
	ds_bpermute_b32 v4, v6, v0
	s_waitcnt lgkmcnt(0)
	v_add_f32_e32 v0, v0, v4
	;; [unrolled: 3-line block ×4, first 2 shown]
	ds_bpermute_b32 v4, v9, v0
	s_mov_b64 s[2:3], exec
	v_readlane_b32 s4, v18, 42
	v_readlane_b32 s5, v18, 43
	s_and_b64 s[4:5], s[2:3], s[4:5]
	s_mov_b64 exec, s[4:5]
	s_cbranch_execz .LBB5_283
; %bb.282:
	v_mov_b32_e32 v5, 0
	ds_read_b32 v5, v5 offset:16380
	s_waitcnt lgkmcnt(1)
	v_add_f32_e32 v0, v0, v4
	v_sub_f32_e32 v0, v11, v0
	s_waitcnt lgkmcnt(0)
	v_div_scale_f32 v4, s[4:5], v5, v5, v0
	v_div_scale_f32 v6, vcc, v0, v5, v0
	v_rcp_f32_e32 v7, v4
	v_fma_f32 v8, -v4, v7, 1.0
	v_fmac_f32_e32 v7, v8, v7
	v_mul_f32_e32 v8, v6, v7
	v_fma_f32 v9, -v4, v8, v6
	v_fmac_f32_e32 v8, v9, v7
	v_fma_f32 v4, -v4, v8, v6
	v_div_fmas_f32 v4, v4, v7, v8
	v_div_fixup_f32 v11, v4, v5, v0
.LBB5_283:
	s_or_b64 exec, exec, s[2:3]
	s_mul_i32 s2, s45, s48
	s_mul_hi_u32 s3, s44, s48
	s_add_i32 s3, s3, s2
	s_mul_i32 s2, s44, s48
	s_mul_i32 s4, s47, s33
	s_mul_hi_u32 s5, s46, s33
	s_add_i32 s5, s5, s4
	s_lshl_b64 s[2:3], s[2:3], 2
	s_mul_i32 s4, s46, s33
	s_add_u32 s2, s0, s2
	s_addc_u32 s3, s1, s3
	s_lshl_b64 s[0:1], s[4:5], 2
	s_add_u32 s0, s2, s0
	s_addc_u32 s1, s3, s1
	s_mov_b64 s[2:3], exec
	v_readlane_b32 s4, v18, 0
	v_readlane_b32 s5, v18, 1
	s_and_b64 s[4:5], s[2:3], s[4:5]
	s_mov_b64 exec, s[4:5]
	s_cbranch_execz .LBB5_285
; %bb.284:
	v_readlane_b32 s4, v18, 2
	v_readlane_b32 s5, v18, 3
	v_cndmask_b32_e64 v0, v11, v10, s[4:5]
	v_add_lshl_u32 v2, v2, v1, 2
	global_store_dword v2, v0, s[0:1]
.LBB5_285:
	s_or_b64 exec, exec, s[2:3]
	v_readlane_b32 s2, v18, 2
	v_readlane_b32 s3, v18, 3
	s_and_b64 exec, exec, s[2:3]
	s_cbranch_execz .LBB5_287
; %bb.286:
	v_add_lshl_u32 v0, v3, v1, 2
	global_store_dword v0, v11, s[0:1]
.LBB5_287:
	s_endpgm
	.section	.rodata,"a",@progbits
	.p2align	6, 0x0
	.amdhsa_kernel _ZL18solve_tri_f32_fastILi64ELi10EEvPKfS1_Pf15HIP_vector_typeIjLj3EEmmmmmmii
		.amdhsa_group_segment_fixed_size 16384
		.amdhsa_private_segment_fixed_size 0
		.amdhsa_kernarg_size 352
		.amdhsa_user_sgpr_count 6
		.amdhsa_user_sgpr_private_segment_buffer 1
		.amdhsa_user_sgpr_dispatch_ptr 0
		.amdhsa_user_sgpr_queue_ptr 0
		.amdhsa_user_sgpr_kernarg_segment_ptr 1
		.amdhsa_user_sgpr_dispatch_id 0
		.amdhsa_user_sgpr_flat_scratch_init 0
		.amdhsa_user_sgpr_private_segment_size 0
		.amdhsa_uses_dynamic_stack 0
		.amdhsa_system_sgpr_private_segment_wavefront_offset 0
		.amdhsa_system_sgpr_workgroup_id_x 1
		.amdhsa_system_sgpr_workgroup_id_y 0
		.amdhsa_system_sgpr_workgroup_id_z 0
		.amdhsa_system_sgpr_workgroup_info 0
		.amdhsa_system_vgpr_workitem_id 1
		.amdhsa_next_free_vgpr 29
		.amdhsa_next_free_sgpr 96
		.amdhsa_reserve_vcc 1
		.amdhsa_reserve_flat_scratch 0
		.amdhsa_float_round_mode_32 0
		.amdhsa_float_round_mode_16_64 0
		.amdhsa_float_denorm_mode_32 3
		.amdhsa_float_denorm_mode_16_64 3
		.amdhsa_dx10_clamp 1
		.amdhsa_ieee_mode 1
		.amdhsa_fp16_overflow 0
		.amdhsa_exception_fp_ieee_invalid_op 0
		.amdhsa_exception_fp_denorm_src 0
		.amdhsa_exception_fp_ieee_div_zero 0
		.amdhsa_exception_fp_ieee_overflow 0
		.amdhsa_exception_fp_ieee_underflow 0
		.amdhsa_exception_fp_ieee_inexact 0
		.amdhsa_exception_int_div_zero 0
	.end_amdhsa_kernel
	.section	.text._ZL18solve_tri_f32_fastILi64ELi10EEvPKfS1_Pf15HIP_vector_typeIjLj3EEmmmmmmii,"axG",@progbits,_ZL18solve_tri_f32_fastILi64ELi10EEvPKfS1_Pf15HIP_vector_typeIjLj3EEmmmmmmii,comdat
.Lfunc_end5:
	.size	_ZL18solve_tri_f32_fastILi64ELi10EEvPKfS1_Pf15HIP_vector_typeIjLj3EEmmmmmmii, .Lfunc_end5-_ZL18solve_tri_f32_fastILi64ELi10EEvPKfS1_Pf15HIP_vector_typeIjLj3EEmmmmmmii
                                        ; -- End function
	.set _ZL18solve_tri_f32_fastILi64ELi10EEvPKfS1_Pf15HIP_vector_typeIjLj3EEmmmmmmii.num_vgpr, 19
	.set _ZL18solve_tri_f32_fastILi64ELi10EEvPKfS1_Pf15HIP_vector_typeIjLj3EEmmmmmmii.num_agpr, 0
	.set _ZL18solve_tri_f32_fastILi64ELi10EEvPKfS1_Pf15HIP_vector_typeIjLj3EEmmmmmmii.numbered_sgpr, 96
	.set _ZL18solve_tri_f32_fastILi64ELi10EEvPKfS1_Pf15HIP_vector_typeIjLj3EEmmmmmmii.num_named_barrier, 0
	.set _ZL18solve_tri_f32_fastILi64ELi10EEvPKfS1_Pf15HIP_vector_typeIjLj3EEmmmmmmii.private_seg_size, 0
	.set _ZL18solve_tri_f32_fastILi64ELi10EEvPKfS1_Pf15HIP_vector_typeIjLj3EEmmmmmmii.uses_vcc, 1
	.set _ZL18solve_tri_f32_fastILi64ELi10EEvPKfS1_Pf15HIP_vector_typeIjLj3EEmmmmmmii.uses_flat_scratch, 0
	.set _ZL18solve_tri_f32_fastILi64ELi10EEvPKfS1_Pf15HIP_vector_typeIjLj3EEmmmmmmii.has_dyn_sized_stack, 0
	.set _ZL18solve_tri_f32_fastILi64ELi10EEvPKfS1_Pf15HIP_vector_typeIjLj3EEmmmmmmii.has_recursion, 0
	.set _ZL18solve_tri_f32_fastILi64ELi10EEvPKfS1_Pf15HIP_vector_typeIjLj3EEmmmmmmii.has_indirect_call, 0
	.section	.AMDGPU.csdata,"",@progbits
; Kernel info:
; codeLenInByte = 17136
; TotalNumSgprs: 100
; NumVgprs: 19
; ScratchSize: 0
; MemoryBound: 0
; FloatMode: 240
; IeeeMode: 1
; LDSByteSize: 16384 bytes/workgroup (compile time only)
; SGPRBlocks: 12
; VGPRBlocks: 7
; NumSGPRsForWavesPerEU: 100
; NumVGPRsForWavesPerEU: 29
; Occupancy: 8
; WaveLimiterHint : 0
; COMPUTE_PGM_RSRC2:SCRATCH_EN: 0
; COMPUTE_PGM_RSRC2:USER_SGPR: 6
; COMPUTE_PGM_RSRC2:TRAP_HANDLER: 0
; COMPUTE_PGM_RSRC2:TGID_X_EN: 1
; COMPUTE_PGM_RSRC2:TGID_Y_EN: 0
; COMPUTE_PGM_RSRC2:TGID_Z_EN: 0
; COMPUTE_PGM_RSRC2:TIDIG_COMP_CNT: 1
	.section	.text._ZL18solve_tri_f32_fastILi64ELi8EEvPKfS1_Pf15HIP_vector_typeIjLj3EEmmmmmmii,"axG",@progbits,_ZL18solve_tri_f32_fastILi64ELi8EEvPKfS1_Pf15HIP_vector_typeIjLj3EEmmmmmmii,comdat
	.globl	_ZL18solve_tri_f32_fastILi64ELi8EEvPKfS1_Pf15HIP_vector_typeIjLj3EEmmmmmmii ; -- Begin function _ZL18solve_tri_f32_fastILi64ELi8EEvPKfS1_Pf15HIP_vector_typeIjLj3EEmmmmmmii
	.p2align	8
	.type	_ZL18solve_tri_f32_fastILi64ELi8EEvPKfS1_Pf15HIP_vector_typeIjLj3EEmmmmmmii,@function
_ZL18solve_tri_f32_fastILi64ELi8EEvPKfS1_Pf15HIP_vector_typeIjLj3EEmmmmmmii: ; @_ZL18solve_tri_f32_fastILi64ELi8EEvPKfS1_Pf15HIP_vector_typeIjLj3EEmmmmmmii
; %bb.0:
	v_cmp_gt_u32_e32 vcc, 8, v1
	s_and_saveexec_b64 s[0:1], vcc
	s_cbranch_execz .LBB6_293
; %bb.1:
	s_load_dwordx4 s[0:3], s[4:5], 0x18
	s_load_dwordx2 s[16:17], s[4:5], 0x0
	s_load_dwordx8 s[8:15], s[4:5], 0x28
	s_waitcnt lgkmcnt(0)
	s_mul_hi_u32 s0, s0, s6
	s_add_i32 s0, s6, s0
	s_lshr_b32 s33, s0, s1
	s_mul_i32 s0, s33, s2
	s_sub_i32 s48, s6, s0
	s_mul_i32 s1, s9, s48
	s_mul_hi_u32 s2, s8, s48
	s_mul_i32 s0, s8, s48
	s_add_i32 s1, s2, s1
	s_lshl_b64 s[0:1], s[0:1], 2
	s_add_u32 s2, s16, s0
	s_load_dword s6, s[4:5], 0x6c
	s_addc_u32 s3, s17, s1
	s_mul_i32 s0, s11, s33
	s_mul_hi_u32 s1, s10, s33
	s_add_i32 s1, s1, s0
	s_mul_i32 s0, s10, s33
	s_lshl_b64 s[0:1], s[0:1], 2
	s_add_u32 s0, s2, s0
	s_addc_u32 s1, s3, s1
	s_waitcnt lgkmcnt(0)
	s_and_b32 s2, s6, 0xffff
	v_mad_u32_u24 v3, v1, s2, v0
	s_movk_i32 s2, 0x1000
	v_cmp_gt_u32_e32 vcc, s2, v3
	v_lshlrev_b32_e32 v2, 2, v3
	s_and_saveexec_b64 s[2:3], vcc
	s_cbranch_execz .LBB6_3
; %bb.2:
	global_load_dword v4, v2, s[0:1]
	s_waitcnt vmcnt(0)
	ds_write_b32 v2, v4
.LBB6_3:
	s_or_b64 exec, exec, s[2:3]
	s_movk_i32 s2, 0xf00
	v_cmp_gt_u32_e32 vcc, s2, v3
	s_and_saveexec_b64 s[2:3], vcc
	s_cbranch_execz .LBB6_5
; %bb.4:
	global_load_dword v4, v2, s[0:1] offset:1024
	s_waitcnt vmcnt(0)
	ds_write_b32 v2, v4 offset:1024
.LBB6_5:
	s_or_b64 exec, exec, s[2:3]
	s_movk_i32 s2, 0xe00
	v_cmp_gt_u32_e32 vcc, s2, v3
	s_and_saveexec_b64 s[2:3], vcc
	s_cbranch_execz .LBB6_7
; %bb.6:
	global_load_dword v4, v2, s[0:1] offset:2048
	s_waitcnt vmcnt(0)
	ds_write_b32 v2, v4 offset:2048
.LBB6_7:
	;; [unrolled: 10-line block ×3, first 2 shown]
	s_or_b64 exec, exec, s[2:3]
	s_movk_i32 s2, 0xc00
	v_cmp_gt_u32_e32 vcc, s2, v3
	s_and_saveexec_b64 s[2:3], vcc
	s_cbranch_execz .LBB6_11
; %bb.10:
	v_add_u32_e32 v4, 0x1000, v2
	global_load_dword v4, v4, s[0:1]
	s_waitcnt vmcnt(0)
	ds_write_b32 v2, v4 offset:4096
.LBB6_11:
	s_or_b64 exec, exec, s[2:3]
	s_movk_i32 s2, 0xb00
	v_cmp_gt_u32_e32 vcc, s2, v3
	s_and_saveexec_b64 s[2:3], vcc
	s_cbranch_execz .LBB6_13
; %bb.12:
	v_add_u32_e32 v4, 0x1400, v2
	global_load_dword v4, v4, s[0:1]
	s_waitcnt vmcnt(0)
	ds_write_b32 v2, v4 offset:5120
.LBB6_13:
	;; [unrolled: 11-line block ×4, first 2 shown]
	s_or_b64 exec, exec, s[2:3]
	s_movk_i32 s2, 0x800
	v_cmp_gt_u32_e32 vcc, s2, v3
	s_and_saveexec_b64 s[2:3], vcc
	s_cbranch_execz .LBB6_19
; %bb.18:
	v_or_b32_e32 v4, 0x2000, v2
	global_load_dword v4, v4, s[0:1]
	s_waitcnt vmcnt(0)
	ds_write_b32 v2, v4 offset:8192
.LBB6_19:
	s_or_b64 exec, exec, s[2:3]
	s_movk_i32 s2, 0x700
	v_cmp_gt_u32_e32 vcc, s2, v3
	s_and_saveexec_b64 s[2:3], vcc
	s_cbranch_execz .LBB6_21
; %bb.20:
	v_add_u32_e32 v4, 0x2400, v2
	global_load_dword v4, v4, s[0:1]
	s_waitcnt vmcnt(0)
	ds_write_b32 v2, v4 offset:9216
.LBB6_21:
	s_or_b64 exec, exec, s[2:3]
	s_movk_i32 s2, 0x600
	v_cmp_gt_u32_e32 vcc, s2, v3
	s_and_saveexec_b64 s[2:3], vcc
	s_cbranch_execz .LBB6_23
; %bb.22:
	v_add_u32_e32 v4, 0x2800, v2
	global_load_dword v4, v4, s[0:1]
	s_waitcnt vmcnt(0)
	ds_write_b32 v2, v4 offset:10240
.LBB6_23:
	;; [unrolled: 11-line block ×3, first 2 shown]
	s_or_b64 exec, exec, s[2:3]
	s_movk_i32 s2, 0x400
	v_cmp_gt_u32_e32 vcc, s2, v3
	s_and_saveexec_b64 s[2:3], vcc
	s_cbranch_execz .LBB6_27
; %bb.26:
	v_or_b32_e32 v4, 0x3000, v2
	global_load_dword v4, v4, s[0:1]
	s_waitcnt vmcnt(0)
	ds_write_b32 v2, v4 offset:12288
.LBB6_27:
	s_or_b64 exec, exec, s[2:3]
	s_load_dwordx4 s[44:47], s[4:5], 0x48
	s_movk_i32 s2, 0x300
	v_cmp_gt_u32_e32 vcc, s2, v3
	s_and_saveexec_b64 s[2:3], vcc
	s_cbranch_execz .LBB6_29
; %bb.28:
	v_add_u32_e32 v4, 0x3400, v2
	global_load_dword v4, v4, s[0:1]
	s_waitcnt vmcnt(0)
	ds_write_b32 v2, v4 offset:13312
.LBB6_29:
	s_or_b64 exec, exec, s[2:3]
	s_load_dwordx2 s[2:3], s[4:5], 0x8
	s_movk_i32 s6, 0x200
	v_cmp_gt_u32_e32 vcc, s6, v3
	s_and_saveexec_b64 s[6:7], vcc
	s_cbranch_execz .LBB6_31
; %bb.30:
	v_or_b32_e32 v4, 0x3800, v2
	global_load_dword v4, v4, s[0:1]
	s_waitcnt vmcnt(0)
	ds_write_b32 v2, v4 offset:14336
.LBB6_31:
	s_or_b64 exec, exec, s[6:7]
	s_movk_i32 s6, 0x100
	v_cmp_gt_u32_e32 vcc, s6, v3
	s_and_saveexec_b64 s[6:7], vcc
	s_cbranch_execz .LBB6_33
; %bb.32:
	v_or_b32_e32 v3, 0x3c00, v2
	global_load_dword v3, v3, s[0:1]
	s_waitcnt vmcnt(0)
	ds_write_b32 v2, v3 offset:15360
.LBB6_33:
	s_or_b64 exec, exec, s[6:7]
	s_mul_i32 s0, s13, s48
	s_mul_hi_u32 s1, s12, s48
	s_add_i32 s1, s1, s0
	s_mul_i32 s0, s12, s48
	s_mul_i32 s6, s15, s33
	s_mul_hi_u32 s7, s14, s33
	s_add_i32 s7, s7, s6
	s_lshl_b64 s[0:1], s[0:1], 2
	s_mul_i32 s6, s14, s33
	s_waitcnt lgkmcnt(0)
	s_add_u32 s2, s2, s0
	s_addc_u32 s3, s3, s1
	s_lshl_b64 s[0:1], s[6:7], 2
	s_add_u32 s0, s2, s0
	s_addc_u32 s1, s3, s1
	v_mov_b32_e32 v10, 0
	v_lshlrev_b32_e32 v1, 2, v1
	v_mov_b32_e32 v9, 0
	s_barrier
	v_cmp_gt_u32_e64 s[6:7], 64, v0
	s_mov_b64 s[2:3], exec
                                        ; implicit-def: $vgpr17 : SGPR spill to VGPR lane
	v_writelane_b32 v17, s6, 0
	v_writelane_b32 v17, s7, 1
	s_and_b64 s[6:7], s[2:3], s[6:7]
	s_mov_b64 exec, s[6:7]
	s_cbranch_execz .LBB6_35
; %bb.34:
	v_lshl_or_b32 v2, v0, 5, v1
	global_load_dword v9, v2, s[0:1]
.LBB6_35:
	s_or_b64 exec, exec, s[2:3]
	v_add_u32_e32 v2, 32, v0
	v_cmp_gt_u32_e64 s[6:7], 32, v0
	s_mov_b64 s[2:3], exec
	v_writelane_b32 v17, s6, 2
	v_writelane_b32 v17, s7, 3
	s_and_b64 s[6:7], s[2:3], s[6:7]
	s_mov_b64 exec, s[6:7]
	s_cbranch_execz .LBB6_37
; %bb.36:
	v_lshl_or_b32 v3, v2, 5, v1
	global_load_dword v10, v3, s[0:1]
.LBB6_37:
	s_or_b64 exec, exec, s[2:3]
	v_cmp_eq_u32_e64 s[6:7], 0, v0
	s_and_saveexec_b64 s[0:1], s[6:7]
	s_cbranch_execz .LBB6_39
; %bb.38:
	v_mov_b32_e32 v3, 0
	ds_read_b32 v3, v3
	s_waitcnt vmcnt(0) lgkmcnt(0)
	v_div_scale_f32 v4, s[2:3], v3, v3, v9
	v_div_scale_f32 v5, vcc, v9, v3, v9
	v_rcp_f32_e32 v6, v4
	v_fma_f32 v7, -v4, v6, 1.0
	v_fmac_f32_e32 v6, v7, v6
	v_mul_f32_e32 v7, v5, v6
	v_fma_f32 v8, -v4, v7, v5
	v_fmac_f32_e32 v7, v8, v6
	v_fma_f32 v4, -v4, v7, v5
	v_div_fmas_f32 v4, v4, v6, v7
	v_div_fixup_f32 v9, v4, v3, v9
.LBB6_39:
	s_or_b64 exec, exec, s[0:1]
	v_lshlrev_b32_e32 v3, 2, v0
	v_mov_b32_e32 v6, 0
	s_and_saveexec_b64 s[0:1], s[6:7]
	s_cbranch_execz .LBB6_41
; %bb.40:
	ds_read_b32 v4, v3 offset:256
	s_waitcnt vmcnt(0) lgkmcnt(0)
	v_fma_f32 v6, v9, v4, 0
.LBB6_41:
	s_or_b64 exec, exec, s[0:1]
	v_mbcnt_lo_u32_b32 v4, -1, 0
	v_mbcnt_hi_u32_b32 v8, -1, v4
	v_and_b32_e32 v4, 0x60, v8
	v_add_u32_e32 v11, 32, v4
	v_xor_b32_e32 v4, 16, v8
	v_cmp_lt_i32_e32 vcc, v4, v11
	v_cndmask_b32_e32 v4, v8, v4, vcc
	v_lshlrev_b32_e32 v4, 2, v4
	ds_bpermute_b32 v7, v4, v6
	v_xor_b32_e32 v5, 8, v8
	v_cmp_lt_i32_e32 vcc, v5, v11
	v_cndmask_b32_e32 v5, v8, v5, vcc
	v_lshlrev_b32_e32 v5, 2, v5
	s_waitcnt lgkmcnt(0)
	v_add_f32_e32 v7, v6, v7
	ds_bpermute_b32 v12, v5, v7
	v_xor_b32_e32 v6, 4, v8
	v_cmp_lt_i32_e32 vcc, v6, v11
	v_cndmask_b32_e32 v6, v8, v6, vcc
	v_lshlrev_b32_e32 v6, 2, v6
	s_waitcnt lgkmcnt(0)
	v_add_f32_e32 v12, v7, v12
	;; [unrolled: 7-line block ×4, first 2 shown]
	ds_bpermute_b32 v12, v8, v11
	v_cmp_eq_u32_e64 s[72:73], 1, v0
	s_and_saveexec_b64 s[0:1], s[72:73]
	s_cbranch_execz .LBB6_43
; %bb.42:
	v_mov_b32_e32 v13, 0
	ds_read_b32 v13, v13 offset:260
	s_waitcnt lgkmcnt(1)
	v_add_f32_e32 v11, v11, v12
	s_waitcnt vmcnt(0)
	v_sub_f32_e32 v9, v9, v11
	s_waitcnt lgkmcnt(0)
	v_div_scale_f32 v11, s[2:3], v13, v13, v9
	v_div_scale_f32 v12, vcc, v9, v13, v9
	v_rcp_f32_e32 v14, v11
	v_fma_f32 v15, -v11, v14, 1.0
	v_fmac_f32_e32 v14, v15, v14
	v_mul_f32_e32 v15, v12, v14
	v_fma_f32 v16, -v11, v15, v12
	v_fmac_f32_e32 v15, v16, v14
	v_fma_f32 v11, -v11, v15, v12
	v_div_fmas_f32 v11, v11, v14, v15
	v_div_fixup_f32 v9, v11, v13, v9
.LBB6_43:
	s_or_b64 exec, exec, s[0:1]
	v_mov_b32_e32 v11, 0
	v_cmp_gt_u32_e64 s[2:3], 2, v0
	s_mov_b64 s[0:1], exec
	v_writelane_b32 v17, s2, 4
	v_writelane_b32 v17, s3, 5
	s_and_b64 s[2:3], s[0:1], s[2:3]
	s_mov_b64 exec, s[2:3]
	s_cbranch_execz .LBB6_45
; %bb.44:
	ds_read_b32 v11, v3 offset:512
	s_waitcnt vmcnt(0) lgkmcnt(0)
	v_fma_f32 v11, v9, v11, 0
.LBB6_45:
	s_or_b64 exec, exec, s[0:1]
	s_waitcnt lgkmcnt(0)
	ds_bpermute_b32 v12, v4, v11
	v_cmp_eq_u32_e64 s[74:75], 2, v0
	s_waitcnt lgkmcnt(0)
	v_add_f32_e32 v11, v11, v12
	ds_bpermute_b32 v12, v5, v11
	s_waitcnt lgkmcnt(0)
	v_add_f32_e32 v11, v11, v12
	ds_bpermute_b32 v12, v6, v11
	s_waitcnt lgkmcnt(0)
	v_add_f32_e32 v11, v11, v12
	ds_bpermute_b32 v12, v7, v11
	s_waitcnt lgkmcnt(0)
	v_add_f32_e32 v11, v11, v12
	ds_bpermute_b32 v12, v8, v11
	s_and_saveexec_b64 s[0:1], s[74:75]
	s_cbranch_execz .LBB6_47
; %bb.46:
	v_mov_b32_e32 v13, 0
	ds_read_b32 v13, v13 offset:520
	s_waitcnt lgkmcnt(1)
	v_add_f32_e32 v11, v11, v12
	s_waitcnt vmcnt(0)
	v_sub_f32_e32 v9, v9, v11
	s_waitcnt lgkmcnt(0)
	v_div_scale_f32 v11, s[2:3], v13, v13, v9
	v_div_scale_f32 v12, vcc, v9, v13, v9
	v_rcp_f32_e32 v14, v11
	v_fma_f32 v15, -v11, v14, 1.0
	v_fmac_f32_e32 v14, v15, v14
	v_mul_f32_e32 v15, v12, v14
	v_fma_f32 v16, -v11, v15, v12
	v_fmac_f32_e32 v15, v16, v14
	v_fma_f32 v11, -v11, v15, v12
	v_div_fmas_f32 v11, v11, v14, v15
	v_div_fixup_f32 v9, v11, v13, v9
.LBB6_47:
	s_or_b64 exec, exec, s[0:1]
	v_mov_b32_e32 v11, 0
	v_cmp_gt_u32_e64 s[2:3], 3, v0
	s_mov_b64 s[0:1], exec
	v_writelane_b32 v17, s2, 6
	v_writelane_b32 v17, s3, 7
	s_and_b64 s[2:3], s[0:1], s[2:3]
	s_mov_b64 exec, s[2:3]
	s_cbranch_execz .LBB6_49
; %bb.48:
	ds_read_b32 v11, v3 offset:768
	s_waitcnt vmcnt(0) lgkmcnt(0)
	v_fma_f32 v11, v9, v11, 0
.LBB6_49:
	s_or_b64 exec, exec, s[0:1]
	s_waitcnt lgkmcnt(0)
	ds_bpermute_b32 v12, v4, v11
	v_cmp_eq_u32_e64 s[76:77], 3, v0
	s_waitcnt lgkmcnt(0)
	v_add_f32_e32 v11, v11, v12
	ds_bpermute_b32 v12, v5, v11
	s_waitcnt lgkmcnt(0)
	v_add_f32_e32 v11, v11, v12
	ds_bpermute_b32 v12, v6, v11
	s_waitcnt lgkmcnt(0)
	v_add_f32_e32 v11, v11, v12
	ds_bpermute_b32 v12, v7, v11
	s_waitcnt lgkmcnt(0)
	v_add_f32_e32 v11, v11, v12
	ds_bpermute_b32 v12, v8, v11
	;; [unrolled: 52-line block ×18, first 2 shown]
	s_and_saveexec_b64 s[18:19], s[16:17]
	s_cbranch_execz .LBB6_115
; %bb.114:
	v_mov_b32_e32 v13, 0
	ds_read_b32 v13, v13 offset:4940
	s_waitcnt lgkmcnt(1)
	v_add_f32_e32 v11, v11, v12
	s_waitcnt vmcnt(0)
	v_sub_f32_e32 v9, v9, v11
	s_waitcnt lgkmcnt(0)
	v_div_scale_f32 v11, s[20:21], v13, v13, v9
	v_div_scale_f32 v12, vcc, v9, v13, v9
	v_rcp_f32_e32 v14, v11
	v_fma_f32 v15, -v11, v14, 1.0
	v_fmac_f32_e32 v14, v15, v14
	v_mul_f32_e32 v15, v12, v14
	v_fma_f32 v16, -v11, v15, v12
	v_fmac_f32_e32 v15, v16, v14
	v_fma_f32 v11, -v11, v15, v12
	v_div_fmas_f32 v11, v11, v14, v15
	v_div_fixup_f32 v9, v11, v13, v9
.LBB6_115:
	s_or_b64 exec, exec, s[18:19]
	v_cmp_gt_u32_e64 s[50:51], 20, v0
	v_mov_b32_e32 v11, 0
	s_and_saveexec_b64 s[18:19], s[50:51]
	s_cbranch_execz .LBB6_117
; %bb.116:
	ds_read_b32 v11, v3 offset:5120
	s_waitcnt vmcnt(0) lgkmcnt(0)
	v_fma_f32 v11, v9, v11, 0
.LBB6_117:
	s_or_b64 exec, exec, s[18:19]
	s_waitcnt lgkmcnt(0)
	ds_bpermute_b32 v12, v4, v11
	v_cmp_eq_u32_e64 s[18:19], 20, v0
	s_waitcnt lgkmcnt(0)
	v_add_f32_e32 v11, v11, v12
	ds_bpermute_b32 v12, v5, v11
	s_waitcnt lgkmcnt(0)
	v_add_f32_e32 v11, v11, v12
	ds_bpermute_b32 v12, v6, v11
	s_waitcnt lgkmcnt(0)
	v_add_f32_e32 v11, v11, v12
	ds_bpermute_b32 v12, v7, v11
	s_waitcnt lgkmcnt(0)
	v_add_f32_e32 v11, v11, v12
	ds_bpermute_b32 v12, v8, v11
	s_and_saveexec_b64 s[20:21], s[18:19]
	s_cbranch_execz .LBB6_119
; %bb.118:
	v_mov_b32_e32 v13, 0
	ds_read_b32 v13, v13 offset:5200
	s_waitcnt lgkmcnt(1)
	v_add_f32_e32 v11, v11, v12
	s_waitcnt vmcnt(0)
	v_sub_f32_e32 v9, v9, v11
	s_waitcnt lgkmcnt(0)
	v_div_scale_f32 v11, s[22:23], v13, v13, v9
	v_div_scale_f32 v12, vcc, v9, v13, v9
	v_rcp_f32_e32 v14, v11
	v_fma_f32 v15, -v11, v14, 1.0
	v_fmac_f32_e32 v14, v15, v14
	v_mul_f32_e32 v15, v12, v14
	v_fma_f32 v16, -v11, v15, v12
	v_fmac_f32_e32 v15, v16, v14
	v_fma_f32 v11, -v11, v15, v12
	v_div_fmas_f32 v11, v11, v14, v15
	v_div_fixup_f32 v9, v11, v13, v9
.LBB6_119:
	s_or_b64 exec, exec, s[20:21]
	v_cmp_gt_u32_e64 s[52:53], 21, v0
	v_mov_b32_e32 v11, 0
	s_and_saveexec_b64 s[20:21], s[52:53]
	s_cbranch_execz .LBB6_121
; %bb.120:
	ds_read_b32 v11, v3 offset:5376
	s_waitcnt vmcnt(0) lgkmcnt(0)
	v_fma_f32 v11, v9, v11, 0
.LBB6_121:
	s_or_b64 exec, exec, s[20:21]
	s_waitcnt lgkmcnt(0)
	ds_bpermute_b32 v12, v4, v11
	v_cmp_eq_u32_e64 s[20:21], 21, v0
	s_waitcnt lgkmcnt(0)
	v_add_f32_e32 v11, v11, v12
	ds_bpermute_b32 v12, v5, v11
	s_waitcnt lgkmcnt(0)
	v_add_f32_e32 v11, v11, v12
	ds_bpermute_b32 v12, v6, v11
	s_waitcnt lgkmcnt(0)
	v_add_f32_e32 v11, v11, v12
	ds_bpermute_b32 v12, v7, v11
	s_waitcnt lgkmcnt(0)
	v_add_f32_e32 v11, v11, v12
	ds_bpermute_b32 v12, v8, v11
	;; [unrolled: 48-line block ×11, first 2 shown]
	s_and_saveexec_b64 s[42:43], s[40:41]
	s_cbranch_execz .LBB6_159
; %bb.158:
	v_mov_b32_e32 v13, 0
	ds_read_b32 v13, v13 offset:7800
	s_waitcnt lgkmcnt(1)
	v_add_f32_e32 v11, v11, v12
	s_waitcnt vmcnt(0)
	v_sub_f32_e32 v9, v9, v11
	s_waitcnt lgkmcnt(0)
	v_div_scale_f32 v11, vcc, v13, v13, v9
	v_div_scale_f32 v12, vcc, v9, v13, v9
	v_rcp_f32_e32 v14, v11
	v_fma_f32 v15, -v11, v14, 1.0
	v_fmac_f32_e32 v14, v15, v14
	v_mul_f32_e32 v15, v12, v14
	v_fma_f32 v16, -v11, v15, v12
	v_fmac_f32_e32 v15, v16, v14
	v_fma_f32 v11, -v11, v15, v12
	v_div_fmas_f32 v11, v11, v14, v15
	v_div_fixup_f32 v9, v11, v13, v9
.LBB6_159:
	s_or_b64 exec, exec, s[42:43]
	v_mov_b32_e32 v11, 0
	v_cmp_gt_u32_e32 vcc, 31, v0
	s_mov_b64 s[42:43], exec
	v_writelane_b32 v17, vcc_lo, 40
	v_writelane_b32 v17, vcc_hi, 41
	s_and_b64 vcc, s[42:43], vcc
	s_mov_b64 exec, vcc
	s_cbranch_execz .LBB6_161
; %bb.160:
	ds_read_b32 v11, v3 offset:7936
	s_waitcnt vmcnt(0) lgkmcnt(0)
	v_fma_f32 v11, v9, v11, 0
.LBB6_161:
	s_or_b64 exec, exec, s[42:43]
	s_waitcnt lgkmcnt(0)
	ds_bpermute_b32 v12, v4, v11
	v_cmp_eq_u32_e32 vcc, 31, v0
	s_waitcnt lgkmcnt(0)
	v_add_f32_e32 v11, v11, v12
	ds_bpermute_b32 v12, v5, v11
	s_waitcnt lgkmcnt(0)
	v_add_f32_e32 v11, v11, v12
	ds_bpermute_b32 v12, v6, v11
	;; [unrolled: 3-line block ×4, first 2 shown]
	s_mov_b64 s[42:43], exec
	v_writelane_b32 v17, vcc_lo, 42
	v_writelane_b32 v17, vcc_hi, 43
	s_and_b64 vcc, s[42:43], vcc
	s_mov_b64 exec, vcc
	s_cbranch_execz .LBB6_163
; %bb.162:
	v_mov_b32_e32 v13, 0
	ds_read_b32 v13, v13 offset:8060
	s_waitcnt lgkmcnt(1)
	v_add_f32_e32 v11, v11, v12
	s_waitcnt vmcnt(0)
	v_sub_f32_e32 v9, v9, v11
	s_waitcnt lgkmcnt(0)
	v_div_scale_f32 v11, vcc, v13, v13, v9
	v_div_scale_f32 v12, vcc, v9, v13, v9
	v_rcp_f32_e32 v14, v11
	v_fma_f32 v15, -v11, v14, 1.0
	v_fmac_f32_e32 v14, v15, v14
	v_mul_f32_e32 v15, v12, v14
	v_fma_f32 v16, -v11, v15, v12
	v_fmac_f32_e32 v15, v16, v14
	v_fma_f32 v11, -v11, v15, v12
	v_div_fmas_f32 v11, v11, v14, v15
	v_div_fixup_f32 v9, v11, v13, v9
.LBB6_163:
	s_or_b64 exec, exec, s[42:43]
	ds_read_b32 v11, v3 offset:8192
	s_waitcnt vmcnt(0) lgkmcnt(0)
	v_mul_f32_e32 v12, v9, v11
	ds_bpermute_b32 v12, v4, v12
	s_waitcnt lgkmcnt(0)
	v_fmac_f32_e32 v12, v9, v11
	ds_bpermute_b32 v11, v5, v12
	s_waitcnt lgkmcnt(0)
	v_add_f32_e32 v11, v12, v11
	ds_bpermute_b32 v12, v6, v11
	s_waitcnt lgkmcnt(0)
	v_add_f32_e32 v11, v11, v12
	ds_bpermute_b32 v12, v7, v11
	s_waitcnt lgkmcnt(0)
	v_add_f32_e32 v11, v11, v12
	ds_bpermute_b32 v12, v8, v11
	s_and_saveexec_b64 s[42:43], s[6:7]
	s_cbranch_execz .LBB6_165
; %bb.164:
	v_mov_b32_e32 v13, 0
	ds_read_b32 v13, v13 offset:8320
	s_waitcnt lgkmcnt(1)
	v_add_f32_e32 v11, v11, v12
	v_sub_f32_e32 v10, v10, v11
	s_waitcnt lgkmcnt(0)
	v_div_scale_f32 v11, vcc, v13, v13, v10
	v_div_scale_f32 v12, vcc, v10, v13, v10
	v_rcp_f32_e32 v14, v11
	v_fma_f32 v15, -v11, v14, 1.0
	v_fmac_f32_e32 v14, v15, v14
	v_mul_f32_e32 v15, v12, v14
	v_fma_f32 v16, -v11, v15, v12
	v_fmac_f32_e32 v15, v16, v14
	v_fma_f32 v11, -v11, v15, v12
	v_div_fmas_f32 v11, v11, v14, v15
	v_div_fixup_f32 v10, v11, v13, v10
.LBB6_165:
	s_or_b64 exec, exec, s[42:43]
	ds_read_b32 v11, v3 offset:8448
	s_waitcnt lgkmcnt(0)
	v_mul_f32_e32 v11, v9, v11
	s_and_saveexec_b64 s[42:43], s[6:7]
	s_cbranch_execz .LBB6_167
; %bb.166:
	ds_read_b32 v12, v3 offset:8576
	s_waitcnt lgkmcnt(0)
	v_fmac_f32_e32 v11, v10, v12
.LBB6_167:
	s_or_b64 exec, exec, s[42:43]
	ds_bpermute_b32 v12, v4, v11
	s_waitcnt lgkmcnt(0)
	v_add_f32_e32 v11, v11, v12
	ds_bpermute_b32 v12, v5, v11
	s_waitcnt lgkmcnt(0)
	v_add_f32_e32 v11, v11, v12
	ds_bpermute_b32 v12, v6, v11
	s_waitcnt lgkmcnt(0)
	v_add_f32_e32 v11, v11, v12
	ds_bpermute_b32 v12, v7, v11
	s_waitcnt lgkmcnt(0)
	v_add_f32_e32 v11, v11, v12
	ds_bpermute_b32 v12, v8, v11
	s_and_saveexec_b64 s[6:7], s[72:73]
	s_cbranch_execz .LBB6_169
; %bb.168:
	v_mov_b32_e32 v13, 0
	ds_read_b32 v13, v13 offset:8580
	s_waitcnt lgkmcnt(1)
	v_add_f32_e32 v11, v11, v12
	v_sub_f32_e32 v10, v10, v11
	s_waitcnt lgkmcnt(0)
	v_div_scale_f32 v11, s[42:43], v13, v13, v10
	v_div_scale_f32 v12, vcc, v10, v13, v10
	v_rcp_f32_e32 v14, v11
	v_fma_f32 v15, -v11, v14, 1.0
	v_fmac_f32_e32 v14, v15, v14
	v_mul_f32_e32 v15, v12, v14
	v_fma_f32 v16, -v11, v15, v12
	v_fmac_f32_e32 v15, v16, v14
	v_fma_f32 v11, -v11, v15, v12
	v_div_fmas_f32 v11, v11, v14, v15
	v_div_fixup_f32 v10, v11, v13, v10
.LBB6_169:
	s_or_b64 exec, exec, s[6:7]
	ds_read_b32 v11, v3 offset:8704
	s_waitcnt lgkmcnt(0)
	v_mul_f32_e32 v11, v9, v11
	s_mov_b64 s[6:7], exec
	v_readlane_b32 s42, v17, 4
	v_readlane_b32 s43, v17, 5
	s_and_b64 s[42:43], s[6:7], s[42:43]
	s_mov_b64 exec, s[42:43]
	s_cbranch_execz .LBB6_171
; %bb.170:
	ds_read_b32 v12, v3 offset:8832
	s_waitcnt lgkmcnt(0)
	v_fmac_f32_e32 v11, v10, v12
.LBB6_171:
	s_or_b64 exec, exec, s[6:7]
	ds_bpermute_b32 v12, v4, v11
	s_waitcnt lgkmcnt(0)
	v_add_f32_e32 v11, v11, v12
	ds_bpermute_b32 v12, v5, v11
	s_waitcnt lgkmcnt(0)
	v_add_f32_e32 v11, v11, v12
	ds_bpermute_b32 v12, v6, v11
	s_waitcnt lgkmcnt(0)
	v_add_f32_e32 v11, v11, v12
	ds_bpermute_b32 v12, v7, v11
	s_waitcnt lgkmcnt(0)
	v_add_f32_e32 v11, v11, v12
	ds_bpermute_b32 v12, v8, v11
	s_and_saveexec_b64 s[6:7], s[74:75]
	s_cbranch_execz .LBB6_173
; %bb.172:
	v_mov_b32_e32 v13, 0
	ds_read_b32 v13, v13 offset:8840
	s_waitcnt lgkmcnt(1)
	v_add_f32_e32 v11, v11, v12
	v_sub_f32_e32 v10, v10, v11
	s_waitcnt lgkmcnt(0)
	v_div_scale_f32 v11, s[42:43], v13, v13, v10
	v_div_scale_f32 v12, vcc, v10, v13, v10
	v_rcp_f32_e32 v14, v11
	v_fma_f32 v15, -v11, v14, 1.0
	v_fmac_f32_e32 v14, v15, v14
	v_mul_f32_e32 v15, v12, v14
	v_fma_f32 v16, -v11, v15, v12
	v_fmac_f32_e32 v15, v16, v14
	v_fma_f32 v11, -v11, v15, v12
	v_div_fmas_f32 v11, v11, v14, v15
	v_div_fixup_f32 v10, v11, v13, v10
.LBB6_173:
	s_or_b64 exec, exec, s[6:7]
	ds_read_b32 v11, v3 offset:8960
	s_waitcnt lgkmcnt(0)
	v_mul_f32_e32 v11, v9, v11
	s_mov_b64 s[6:7], exec
	v_readlane_b32 s42, v17, 6
	v_readlane_b32 s43, v17, 7
	s_and_b64 s[42:43], s[6:7], s[42:43]
	s_mov_b64 exec, s[42:43]
	;; [unrolled: 50-line block ×18, first 2 shown]
	s_cbranch_execz .LBB6_239
; %bb.238:
	ds_read_b32 v12, v3 offset:13184
	s_waitcnt lgkmcnt(0)
	v_fmac_f32_e32 v11, v10, v12
.LBB6_239:
	s_or_b64 exec, exec, s[0:1]
	ds_bpermute_b32 v12, v4, v11
	s_waitcnt lgkmcnt(0)
	v_add_f32_e32 v11, v11, v12
	ds_bpermute_b32 v12, v5, v11
	s_waitcnt lgkmcnt(0)
	v_add_f32_e32 v11, v11, v12
	ds_bpermute_b32 v12, v6, v11
	s_waitcnt lgkmcnt(0)
	v_add_f32_e32 v11, v11, v12
	ds_bpermute_b32 v12, v7, v11
	s_waitcnt lgkmcnt(0)
	v_add_f32_e32 v11, v11, v12
	ds_bpermute_b32 v12, v8, v11
	s_and_saveexec_b64 s[0:1], s[16:17]
	s_cbranch_execz .LBB6_241
; %bb.240:
	v_mov_b32_e32 v13, 0
	ds_read_b32 v13, v13 offset:13260
	s_waitcnt lgkmcnt(1)
	v_add_f32_e32 v11, v11, v12
	v_sub_f32_e32 v10, v10, v11
	s_waitcnt lgkmcnt(0)
	v_div_scale_f32 v11, s[2:3], v13, v13, v10
	v_div_scale_f32 v12, vcc, v10, v13, v10
	v_rcp_f32_e32 v14, v11
	v_fma_f32 v15, -v11, v14, 1.0
	v_fmac_f32_e32 v14, v15, v14
	v_mul_f32_e32 v15, v12, v14
	v_fma_f32 v16, -v11, v15, v12
	v_fmac_f32_e32 v15, v16, v14
	v_fma_f32 v11, -v11, v15, v12
	v_div_fmas_f32 v11, v11, v14, v15
	v_div_fixup_f32 v10, v11, v13, v10
.LBB6_241:
	s_or_b64 exec, exec, s[0:1]
	ds_read_b32 v11, v3 offset:13312
	s_waitcnt lgkmcnt(0)
	v_mul_f32_e32 v11, v9, v11
	s_and_saveexec_b64 s[0:1], s[50:51]
	s_cbranch_execz .LBB6_243
; %bb.242:
	ds_read_b32 v12, v3 offset:13440
	s_waitcnt lgkmcnt(0)
	v_fmac_f32_e32 v11, v10, v12
.LBB6_243:
	s_or_b64 exec, exec, s[0:1]
	ds_bpermute_b32 v12, v4, v11
	s_waitcnt lgkmcnt(0)
	v_add_f32_e32 v11, v11, v12
	ds_bpermute_b32 v12, v5, v11
	s_waitcnt lgkmcnt(0)
	v_add_f32_e32 v11, v11, v12
	ds_bpermute_b32 v12, v6, v11
	s_waitcnt lgkmcnt(0)
	v_add_f32_e32 v11, v11, v12
	ds_bpermute_b32 v12, v7, v11
	s_waitcnt lgkmcnt(0)
	v_add_f32_e32 v11, v11, v12
	ds_bpermute_b32 v12, v8, v11
	s_and_saveexec_b64 s[0:1], s[18:19]
	s_cbranch_execz .LBB6_245
; %bb.244:
	v_mov_b32_e32 v13, 0
	ds_read_b32 v13, v13 offset:13520
	s_waitcnt lgkmcnt(1)
	v_add_f32_e32 v11, v11, v12
	v_sub_f32_e32 v10, v10, v11
	s_waitcnt lgkmcnt(0)
	v_div_scale_f32 v11, s[2:3], v13, v13, v10
	v_div_scale_f32 v12, vcc, v10, v13, v10
	v_rcp_f32_e32 v14, v11
	v_fma_f32 v15, -v11, v14, 1.0
	v_fmac_f32_e32 v14, v15, v14
	v_mul_f32_e32 v15, v12, v14
	v_fma_f32 v16, -v11, v15, v12
	v_fmac_f32_e32 v15, v16, v14
	v_fma_f32 v11, -v11, v15, v12
	v_div_fmas_f32 v11, v11, v14, v15
	v_div_fixup_f32 v10, v11, v13, v10
.LBB6_245:
	s_or_b64 exec, exec, s[0:1]
	ds_read_b32 v11, v3 offset:13568
	s_waitcnt lgkmcnt(0)
	v_mul_f32_e32 v11, v9, v11
	s_and_saveexec_b64 s[0:1], s[52:53]
	s_cbranch_execz .LBB6_247
; %bb.246:
	ds_read_b32 v12, v3 offset:13696
	s_waitcnt lgkmcnt(0)
	v_fmac_f32_e32 v11, v10, v12
.LBB6_247:
	s_or_b64 exec, exec, s[0:1]
	ds_bpermute_b32 v12, v4, v11
	s_waitcnt lgkmcnt(0)
	v_add_f32_e32 v11, v11, v12
	ds_bpermute_b32 v12, v5, v11
	s_waitcnt lgkmcnt(0)
	v_add_f32_e32 v11, v11, v12
	ds_bpermute_b32 v12, v6, v11
	s_waitcnt lgkmcnt(0)
	v_add_f32_e32 v11, v11, v12
	ds_bpermute_b32 v12, v7, v11
	s_waitcnt lgkmcnt(0)
	v_add_f32_e32 v11, v11, v12
	ds_bpermute_b32 v12, v8, v11
	s_and_saveexec_b64 s[0:1], s[20:21]
	s_cbranch_execz .LBB6_249
; %bb.248:
	v_mov_b32_e32 v13, 0
	ds_read_b32 v13, v13 offset:13780
	s_waitcnt lgkmcnt(1)
	v_add_f32_e32 v11, v11, v12
	v_sub_f32_e32 v10, v10, v11
	s_waitcnt lgkmcnt(0)
	v_div_scale_f32 v11, s[2:3], v13, v13, v10
	v_div_scale_f32 v12, vcc, v10, v13, v10
	v_rcp_f32_e32 v14, v11
	v_fma_f32 v15, -v11, v14, 1.0
	v_fmac_f32_e32 v14, v15, v14
	v_mul_f32_e32 v15, v12, v14
	v_fma_f32 v16, -v11, v15, v12
	v_fmac_f32_e32 v15, v16, v14
	v_fma_f32 v11, -v11, v15, v12
	v_div_fmas_f32 v11, v11, v14, v15
	v_div_fixup_f32 v10, v11, v13, v10
.LBB6_249:
	s_or_b64 exec, exec, s[0:1]
	ds_read_b32 v11, v3 offset:13824
	s_waitcnt lgkmcnt(0)
	v_mul_f32_e32 v11, v9, v11
	s_and_saveexec_b64 s[0:1], s[54:55]
	s_cbranch_execz .LBB6_251
; %bb.250:
	ds_read_b32 v12, v3 offset:13952
	s_waitcnt lgkmcnt(0)
	v_fmac_f32_e32 v11, v10, v12
.LBB6_251:
	s_or_b64 exec, exec, s[0:1]
	ds_bpermute_b32 v12, v4, v11
	s_waitcnt lgkmcnt(0)
	v_add_f32_e32 v11, v11, v12
	ds_bpermute_b32 v12, v5, v11
	s_waitcnt lgkmcnt(0)
	v_add_f32_e32 v11, v11, v12
	ds_bpermute_b32 v12, v6, v11
	s_waitcnt lgkmcnt(0)
	v_add_f32_e32 v11, v11, v12
	ds_bpermute_b32 v12, v7, v11
	s_waitcnt lgkmcnt(0)
	v_add_f32_e32 v11, v11, v12
	ds_bpermute_b32 v12, v8, v11
	s_and_saveexec_b64 s[0:1], s[22:23]
	s_cbranch_execz .LBB6_253
; %bb.252:
	v_mov_b32_e32 v13, 0
	ds_read_b32 v13, v13 offset:14040
	s_waitcnt lgkmcnt(1)
	v_add_f32_e32 v11, v11, v12
	v_sub_f32_e32 v10, v10, v11
	s_waitcnt lgkmcnt(0)
	v_div_scale_f32 v11, s[2:3], v13, v13, v10
	v_div_scale_f32 v12, vcc, v10, v13, v10
	v_rcp_f32_e32 v14, v11
	v_fma_f32 v15, -v11, v14, 1.0
	v_fmac_f32_e32 v14, v15, v14
	v_mul_f32_e32 v15, v12, v14
	v_fma_f32 v16, -v11, v15, v12
	v_fmac_f32_e32 v15, v16, v14
	v_fma_f32 v11, -v11, v15, v12
	v_div_fmas_f32 v11, v11, v14, v15
	v_div_fixup_f32 v10, v11, v13, v10
.LBB6_253:
	s_or_b64 exec, exec, s[0:1]
	ds_read_b32 v11, v3 offset:14080
	s_waitcnt lgkmcnt(0)
	v_mul_f32_e32 v11, v9, v11
	s_and_saveexec_b64 s[0:1], s[56:57]
	s_cbranch_execz .LBB6_255
; %bb.254:
	ds_read_b32 v12, v3 offset:14208
	s_waitcnt lgkmcnt(0)
	v_fmac_f32_e32 v11, v10, v12
.LBB6_255:
	s_or_b64 exec, exec, s[0:1]
	ds_bpermute_b32 v12, v4, v11
	s_waitcnt lgkmcnt(0)
	v_add_f32_e32 v11, v11, v12
	ds_bpermute_b32 v12, v5, v11
	s_waitcnt lgkmcnt(0)
	v_add_f32_e32 v11, v11, v12
	ds_bpermute_b32 v12, v6, v11
	s_waitcnt lgkmcnt(0)
	v_add_f32_e32 v11, v11, v12
	ds_bpermute_b32 v12, v7, v11
	s_waitcnt lgkmcnt(0)
	v_add_f32_e32 v11, v11, v12
	ds_bpermute_b32 v12, v8, v11
	s_and_saveexec_b64 s[0:1], s[24:25]
	s_cbranch_execz .LBB6_257
; %bb.256:
	v_mov_b32_e32 v13, 0
	ds_read_b32 v13, v13 offset:14300
	s_waitcnt lgkmcnt(1)
	v_add_f32_e32 v11, v11, v12
	v_sub_f32_e32 v10, v10, v11
	s_waitcnt lgkmcnt(0)
	v_div_scale_f32 v11, s[2:3], v13, v13, v10
	v_div_scale_f32 v12, vcc, v10, v13, v10
	v_rcp_f32_e32 v14, v11
	v_fma_f32 v15, -v11, v14, 1.0
	v_fmac_f32_e32 v14, v15, v14
	v_mul_f32_e32 v15, v12, v14
	v_fma_f32 v16, -v11, v15, v12
	v_fmac_f32_e32 v15, v16, v14
	v_fma_f32 v11, -v11, v15, v12
	v_div_fmas_f32 v11, v11, v14, v15
	v_div_fixup_f32 v10, v11, v13, v10
.LBB6_257:
	s_or_b64 exec, exec, s[0:1]
	ds_read_b32 v11, v3 offset:14336
	s_waitcnt lgkmcnt(0)
	v_mul_f32_e32 v11, v9, v11
	s_and_saveexec_b64 s[0:1], s[58:59]
	s_cbranch_execz .LBB6_259
; %bb.258:
	ds_read_b32 v12, v3 offset:14464
	s_waitcnt lgkmcnt(0)
	v_fmac_f32_e32 v11, v10, v12
.LBB6_259:
	s_or_b64 exec, exec, s[0:1]
	ds_bpermute_b32 v12, v4, v11
	s_waitcnt lgkmcnt(0)
	v_add_f32_e32 v11, v11, v12
	ds_bpermute_b32 v12, v5, v11
	s_waitcnt lgkmcnt(0)
	v_add_f32_e32 v11, v11, v12
	ds_bpermute_b32 v12, v6, v11
	s_waitcnt lgkmcnt(0)
	v_add_f32_e32 v11, v11, v12
	ds_bpermute_b32 v12, v7, v11
	s_waitcnt lgkmcnt(0)
	v_add_f32_e32 v11, v11, v12
	ds_bpermute_b32 v12, v8, v11
	s_and_saveexec_b64 s[0:1], s[26:27]
	s_cbranch_execz .LBB6_261
; %bb.260:
	v_mov_b32_e32 v13, 0
	ds_read_b32 v13, v13 offset:14560
	s_waitcnt lgkmcnt(1)
	v_add_f32_e32 v11, v11, v12
	v_sub_f32_e32 v10, v10, v11
	s_waitcnt lgkmcnt(0)
	v_div_scale_f32 v11, s[2:3], v13, v13, v10
	v_div_scale_f32 v12, vcc, v10, v13, v10
	v_rcp_f32_e32 v14, v11
	v_fma_f32 v15, -v11, v14, 1.0
	v_fmac_f32_e32 v14, v15, v14
	v_mul_f32_e32 v15, v12, v14
	v_fma_f32 v16, -v11, v15, v12
	v_fmac_f32_e32 v15, v16, v14
	v_fma_f32 v11, -v11, v15, v12
	v_div_fmas_f32 v11, v11, v14, v15
	v_div_fixup_f32 v10, v11, v13, v10
.LBB6_261:
	s_or_b64 exec, exec, s[0:1]
	ds_read_b32 v11, v3 offset:14592
	s_waitcnt lgkmcnt(0)
	v_mul_f32_e32 v11, v9, v11
	s_and_saveexec_b64 s[0:1], s[60:61]
	s_cbranch_execz .LBB6_263
; %bb.262:
	ds_read_b32 v12, v3 offset:14720
	s_waitcnt lgkmcnt(0)
	v_fmac_f32_e32 v11, v10, v12
.LBB6_263:
	s_or_b64 exec, exec, s[0:1]
	ds_bpermute_b32 v12, v4, v11
	s_waitcnt lgkmcnt(0)
	v_add_f32_e32 v11, v11, v12
	ds_bpermute_b32 v12, v5, v11
	s_waitcnt lgkmcnt(0)
	v_add_f32_e32 v11, v11, v12
	ds_bpermute_b32 v12, v6, v11
	s_waitcnt lgkmcnt(0)
	v_add_f32_e32 v11, v11, v12
	ds_bpermute_b32 v12, v7, v11
	s_waitcnt lgkmcnt(0)
	v_add_f32_e32 v11, v11, v12
	ds_bpermute_b32 v12, v8, v11
	s_and_saveexec_b64 s[0:1], s[28:29]
	s_cbranch_execz .LBB6_265
; %bb.264:
	v_mov_b32_e32 v13, 0
	ds_read_b32 v13, v13 offset:14820
	s_waitcnt lgkmcnt(1)
	v_add_f32_e32 v11, v11, v12
	v_sub_f32_e32 v10, v10, v11
	s_waitcnt lgkmcnt(0)
	v_div_scale_f32 v11, s[2:3], v13, v13, v10
	v_div_scale_f32 v12, vcc, v10, v13, v10
	v_rcp_f32_e32 v14, v11
	v_fma_f32 v15, -v11, v14, 1.0
	v_fmac_f32_e32 v14, v15, v14
	v_mul_f32_e32 v15, v12, v14
	v_fma_f32 v16, -v11, v15, v12
	v_fmac_f32_e32 v15, v16, v14
	v_fma_f32 v11, -v11, v15, v12
	v_div_fmas_f32 v11, v11, v14, v15
	v_div_fixup_f32 v10, v11, v13, v10
.LBB6_265:
	s_or_b64 exec, exec, s[0:1]
	ds_read_b32 v11, v3 offset:14848
	s_waitcnt lgkmcnt(0)
	v_mul_f32_e32 v11, v9, v11
	s_and_saveexec_b64 s[0:1], s[62:63]
	s_cbranch_execz .LBB6_267
; %bb.266:
	ds_read_b32 v12, v3 offset:14976
	s_waitcnt lgkmcnt(0)
	v_fmac_f32_e32 v11, v10, v12
.LBB6_267:
	s_or_b64 exec, exec, s[0:1]
	ds_bpermute_b32 v12, v4, v11
	s_waitcnt lgkmcnt(0)
	v_add_f32_e32 v11, v11, v12
	ds_bpermute_b32 v12, v5, v11
	s_waitcnt lgkmcnt(0)
	v_add_f32_e32 v11, v11, v12
	ds_bpermute_b32 v12, v6, v11
	s_waitcnt lgkmcnt(0)
	v_add_f32_e32 v11, v11, v12
	ds_bpermute_b32 v12, v7, v11
	s_waitcnt lgkmcnt(0)
	v_add_f32_e32 v11, v11, v12
	ds_bpermute_b32 v12, v8, v11
	s_and_saveexec_b64 s[0:1], s[30:31]
	s_cbranch_execz .LBB6_269
; %bb.268:
	v_mov_b32_e32 v13, 0
	ds_read_b32 v13, v13 offset:15080
	s_waitcnt lgkmcnt(1)
	v_add_f32_e32 v11, v11, v12
	v_sub_f32_e32 v10, v10, v11
	s_waitcnt lgkmcnt(0)
	v_div_scale_f32 v11, s[2:3], v13, v13, v10
	v_div_scale_f32 v12, vcc, v10, v13, v10
	v_rcp_f32_e32 v14, v11
	v_fma_f32 v15, -v11, v14, 1.0
	v_fmac_f32_e32 v14, v15, v14
	v_mul_f32_e32 v15, v12, v14
	v_fma_f32 v16, -v11, v15, v12
	v_fmac_f32_e32 v15, v16, v14
	v_fma_f32 v11, -v11, v15, v12
	v_div_fmas_f32 v11, v11, v14, v15
	v_div_fixup_f32 v10, v11, v13, v10
.LBB6_269:
	s_or_b64 exec, exec, s[0:1]
	ds_read_b32 v11, v3 offset:15104
	s_waitcnt lgkmcnt(0)
	v_mul_f32_e32 v11, v9, v11
	s_and_saveexec_b64 s[0:1], s[64:65]
	s_cbranch_execz .LBB6_271
; %bb.270:
	ds_read_b32 v12, v3 offset:15232
	s_waitcnt lgkmcnt(0)
	v_fmac_f32_e32 v11, v10, v12
.LBB6_271:
	s_or_b64 exec, exec, s[0:1]
	ds_bpermute_b32 v12, v4, v11
	s_waitcnt lgkmcnt(0)
	v_add_f32_e32 v11, v11, v12
	ds_bpermute_b32 v12, v5, v11
	s_waitcnt lgkmcnt(0)
	v_add_f32_e32 v11, v11, v12
	ds_bpermute_b32 v12, v6, v11
	s_waitcnt lgkmcnt(0)
	v_add_f32_e32 v11, v11, v12
	ds_bpermute_b32 v12, v7, v11
	s_waitcnt lgkmcnt(0)
	v_add_f32_e32 v11, v11, v12
	ds_bpermute_b32 v12, v8, v11
	s_and_saveexec_b64 s[0:1], s[34:35]
	s_cbranch_execz .LBB6_273
; %bb.272:
	v_mov_b32_e32 v13, 0
	ds_read_b32 v13, v13 offset:15340
	s_waitcnt lgkmcnt(1)
	v_add_f32_e32 v11, v11, v12
	v_sub_f32_e32 v10, v10, v11
	s_waitcnt lgkmcnt(0)
	v_div_scale_f32 v11, s[2:3], v13, v13, v10
	v_div_scale_f32 v12, vcc, v10, v13, v10
	v_rcp_f32_e32 v14, v11
	v_fma_f32 v15, -v11, v14, 1.0
	v_fmac_f32_e32 v14, v15, v14
	v_mul_f32_e32 v15, v12, v14
	v_fma_f32 v16, -v11, v15, v12
	v_fmac_f32_e32 v15, v16, v14
	v_fma_f32 v11, -v11, v15, v12
	v_div_fmas_f32 v11, v11, v14, v15
	v_div_fixup_f32 v10, v11, v13, v10
.LBB6_273:
	s_or_b64 exec, exec, s[0:1]
	ds_read_b32 v11, v3 offset:15360
	s_waitcnt lgkmcnt(0)
	v_mul_f32_e32 v11, v9, v11
	s_and_saveexec_b64 s[0:1], s[66:67]
	s_cbranch_execz .LBB6_275
; %bb.274:
	ds_read_b32 v12, v3 offset:15488
	s_waitcnt lgkmcnt(0)
	v_fmac_f32_e32 v11, v10, v12
.LBB6_275:
	s_or_b64 exec, exec, s[0:1]
	ds_bpermute_b32 v12, v4, v11
	s_waitcnt lgkmcnt(0)
	v_add_f32_e32 v11, v11, v12
	ds_bpermute_b32 v12, v5, v11
	s_waitcnt lgkmcnt(0)
	v_add_f32_e32 v11, v11, v12
	ds_bpermute_b32 v12, v6, v11
	s_waitcnt lgkmcnt(0)
	v_add_f32_e32 v11, v11, v12
	ds_bpermute_b32 v12, v7, v11
	s_waitcnt lgkmcnt(0)
	v_add_f32_e32 v11, v11, v12
	ds_bpermute_b32 v12, v8, v11
	s_and_saveexec_b64 s[0:1], s[36:37]
	s_cbranch_execz .LBB6_277
; %bb.276:
	v_mov_b32_e32 v13, 0
	ds_read_b32 v13, v13 offset:15600
	s_waitcnt lgkmcnt(1)
	v_add_f32_e32 v11, v11, v12
	v_sub_f32_e32 v10, v10, v11
	s_waitcnt lgkmcnt(0)
	v_div_scale_f32 v11, s[2:3], v13, v13, v10
	v_div_scale_f32 v12, vcc, v10, v13, v10
	v_rcp_f32_e32 v14, v11
	v_fma_f32 v15, -v11, v14, 1.0
	v_fmac_f32_e32 v14, v15, v14
	v_mul_f32_e32 v15, v12, v14
	v_fma_f32 v16, -v11, v15, v12
	v_fmac_f32_e32 v15, v16, v14
	v_fma_f32 v11, -v11, v15, v12
	v_div_fmas_f32 v11, v11, v14, v15
	v_div_fixup_f32 v10, v11, v13, v10
.LBB6_277:
	s_or_b64 exec, exec, s[0:1]
	ds_read_b32 v11, v3 offset:15616
	s_waitcnt lgkmcnt(0)
	v_mul_f32_e32 v11, v9, v11
	s_and_saveexec_b64 s[0:1], s[68:69]
	s_cbranch_execz .LBB6_279
; %bb.278:
	ds_read_b32 v12, v3 offset:15744
	s_waitcnt lgkmcnt(0)
	v_fmac_f32_e32 v11, v10, v12
.LBB6_279:
	s_or_b64 exec, exec, s[0:1]
	ds_bpermute_b32 v12, v4, v11
	s_waitcnt lgkmcnt(0)
	v_add_f32_e32 v11, v11, v12
	ds_bpermute_b32 v12, v5, v11
	s_waitcnt lgkmcnt(0)
	v_add_f32_e32 v11, v11, v12
	ds_bpermute_b32 v12, v6, v11
	s_waitcnt lgkmcnt(0)
	v_add_f32_e32 v11, v11, v12
	ds_bpermute_b32 v12, v7, v11
	s_waitcnt lgkmcnt(0)
	v_add_f32_e32 v11, v11, v12
	ds_bpermute_b32 v12, v8, v11
	s_and_saveexec_b64 s[0:1], s[38:39]
	s_cbranch_execz .LBB6_281
; %bb.280:
	v_mov_b32_e32 v13, 0
	ds_read_b32 v13, v13 offset:15860
	s_waitcnt lgkmcnt(1)
	v_add_f32_e32 v11, v11, v12
	v_sub_f32_e32 v10, v10, v11
	s_waitcnt lgkmcnt(0)
	v_div_scale_f32 v11, s[2:3], v13, v13, v10
	v_div_scale_f32 v12, vcc, v10, v13, v10
	v_rcp_f32_e32 v14, v11
	v_fma_f32 v15, -v11, v14, 1.0
	v_fmac_f32_e32 v14, v15, v14
	v_mul_f32_e32 v15, v12, v14
	v_fma_f32 v16, -v11, v15, v12
	v_fmac_f32_e32 v15, v16, v14
	v_fma_f32 v11, -v11, v15, v12
	v_div_fmas_f32 v11, v11, v14, v15
	v_div_fixup_f32 v10, v11, v13, v10
.LBB6_281:
	s_or_b64 exec, exec, s[0:1]
	ds_read_b32 v11, v3 offset:15872
	s_waitcnt lgkmcnt(0)
	v_mul_f32_e32 v11, v9, v11
	s_and_saveexec_b64 s[0:1], s[70:71]
	s_cbranch_execz .LBB6_283
; %bb.282:
	ds_read_b32 v12, v3 offset:16000
	s_waitcnt lgkmcnt(0)
	v_fmac_f32_e32 v11, v10, v12
.LBB6_283:
	s_or_b64 exec, exec, s[0:1]
	ds_bpermute_b32 v12, v4, v11
	s_waitcnt lgkmcnt(0)
	v_add_f32_e32 v11, v11, v12
	ds_bpermute_b32 v12, v5, v11
	s_waitcnt lgkmcnt(0)
	v_add_f32_e32 v11, v11, v12
	;; [unrolled: 3-line block ×4, first 2 shown]
	ds_bpermute_b32 v12, v8, v11
	s_and_saveexec_b64 s[0:1], s[40:41]
	s_cbranch_execz .LBB6_285
; %bb.284:
	v_mov_b32_e32 v13, 0
	ds_read_b32 v13, v13 offset:16120
	s_waitcnt lgkmcnt(1)
	v_add_f32_e32 v11, v11, v12
	v_sub_f32_e32 v10, v10, v11
	s_waitcnt lgkmcnt(0)
	v_div_scale_f32 v11, s[2:3], v13, v13, v10
	v_div_scale_f32 v12, vcc, v10, v13, v10
	v_rcp_f32_e32 v14, v11
	v_fma_f32 v15, -v11, v14, 1.0
	v_fmac_f32_e32 v14, v15, v14
	v_mul_f32_e32 v15, v12, v14
	v_fma_f32 v16, -v11, v15, v12
	v_fmac_f32_e32 v15, v16, v14
	v_fma_f32 v11, -v11, v15, v12
	v_div_fmas_f32 v11, v11, v14, v15
	v_div_fixup_f32 v10, v11, v13, v10
.LBB6_285:
	s_or_b64 exec, exec, s[0:1]
	ds_read_b32 v11, v3 offset:16128
	s_load_dwordx2 s[0:1], s[4:5], 0x10
	s_waitcnt lgkmcnt(0)
	v_mul_f32_e32 v11, v9, v11
	s_mov_b64 s[2:3], exec
	v_readlane_b32 s4, v17, 40
	v_readlane_b32 s5, v17, 41
	s_and_b64 s[4:5], s[2:3], s[4:5]
	s_mov_b64 exec, s[4:5]
	s_cbranch_execz .LBB6_287
; %bb.286:
	ds_read_b32 v3, v3 offset:16256
	s_waitcnt lgkmcnt(0)
	v_fmac_f32_e32 v11, v10, v3
.LBB6_287:
	s_or_b64 exec, exec, s[2:3]
	ds_bpermute_b32 v3, v4, v11
	s_waitcnt lgkmcnt(0)
	v_add_f32_e32 v3, v11, v3
	ds_bpermute_b32 v4, v5, v3
	s_waitcnt lgkmcnt(0)
	v_add_f32_e32 v3, v3, v4
	;; [unrolled: 3-line block ×4, first 2 shown]
	ds_bpermute_b32 v4, v8, v3
	s_mov_b64 s[2:3], exec
	v_readlane_b32 s4, v17, 42
	v_readlane_b32 s5, v17, 43
	s_and_b64 s[4:5], s[2:3], s[4:5]
	s_mov_b64 exec, s[4:5]
	s_cbranch_execz .LBB6_289
; %bb.288:
	v_mov_b32_e32 v5, 0
	ds_read_b32 v5, v5 offset:16380
	s_waitcnt lgkmcnt(1)
	v_add_f32_e32 v3, v3, v4
	v_sub_f32_e32 v3, v10, v3
	s_waitcnt lgkmcnt(0)
	v_div_scale_f32 v4, s[4:5], v5, v5, v3
	v_div_scale_f32 v6, vcc, v3, v5, v3
	v_rcp_f32_e32 v7, v4
	v_fma_f32 v8, -v4, v7, 1.0
	v_fmac_f32_e32 v7, v8, v7
	v_mul_f32_e32 v8, v6, v7
	v_fma_f32 v10, -v4, v8, v6
	v_fmac_f32_e32 v8, v10, v7
	v_fma_f32 v4, -v4, v8, v6
	v_div_fmas_f32 v4, v4, v7, v8
	v_div_fixup_f32 v10, v4, v5, v3
.LBB6_289:
	s_or_b64 exec, exec, s[2:3]
	s_mul_i32 s2, s45, s48
	s_mul_hi_u32 s3, s44, s48
	s_add_i32 s3, s3, s2
	s_mul_i32 s2, s44, s48
	s_mul_i32 s4, s47, s33
	s_mul_hi_u32 s5, s46, s33
	s_add_i32 s5, s5, s4
	s_lshl_b64 s[2:3], s[2:3], 2
	s_mul_i32 s4, s46, s33
	s_add_u32 s2, s0, s2
	s_addc_u32 s3, s1, s3
	s_lshl_b64 s[0:1], s[4:5], 2
	s_add_u32 s0, s2, s0
	s_addc_u32 s1, s3, s1
	s_mov_b64 s[2:3], exec
	v_readlane_b32 s4, v17, 0
	v_readlane_b32 s5, v17, 1
	s_and_b64 s[4:5], s[2:3], s[4:5]
	s_mov_b64 exec, s[4:5]
	s_cbranch_execz .LBB6_291
; %bb.290:
	v_readlane_b32 s4, v17, 2
	v_readlane_b32 s5, v17, 3
	v_lshl_or_b32 v0, v0, 5, v1
	v_cndmask_b32_e64 v3, v10, v9, s[4:5]
	global_store_dword v0, v3, s[0:1]
.LBB6_291:
	s_or_b64 exec, exec, s[2:3]
	v_readlane_b32 s2, v17, 2
	v_readlane_b32 s3, v17, 3
	s_and_b64 exec, exec, s[2:3]
	s_cbranch_execz .LBB6_293
; %bb.292:
	v_lshl_or_b32 v0, v2, 5, v1
	global_store_dword v0, v10, s[0:1]
.LBB6_293:
	s_endpgm
	.section	.rodata,"a",@progbits
	.p2align	6, 0x0
	.amdhsa_kernel _ZL18solve_tri_f32_fastILi64ELi8EEvPKfS1_Pf15HIP_vector_typeIjLj3EEmmmmmmii
		.amdhsa_group_segment_fixed_size 16384
		.amdhsa_private_segment_fixed_size 0
		.amdhsa_kernarg_size 352
		.amdhsa_user_sgpr_count 6
		.amdhsa_user_sgpr_private_segment_buffer 1
		.amdhsa_user_sgpr_dispatch_ptr 0
		.amdhsa_user_sgpr_queue_ptr 0
		.amdhsa_user_sgpr_kernarg_segment_ptr 1
		.amdhsa_user_sgpr_dispatch_id 0
		.amdhsa_user_sgpr_flat_scratch_init 0
		.amdhsa_user_sgpr_private_segment_size 0
		.amdhsa_uses_dynamic_stack 0
		.amdhsa_system_sgpr_private_segment_wavefront_offset 0
		.amdhsa_system_sgpr_workgroup_id_x 1
		.amdhsa_system_sgpr_workgroup_id_y 0
		.amdhsa_system_sgpr_workgroup_id_z 0
		.amdhsa_system_sgpr_workgroup_info 0
		.amdhsa_system_vgpr_workitem_id 1
		.amdhsa_next_free_vgpr 29
		.amdhsa_next_free_sgpr 96
		.amdhsa_reserve_vcc 1
		.amdhsa_reserve_flat_scratch 0
		.amdhsa_float_round_mode_32 0
		.amdhsa_float_round_mode_16_64 0
		.amdhsa_float_denorm_mode_32 3
		.amdhsa_float_denorm_mode_16_64 3
		.amdhsa_dx10_clamp 1
		.amdhsa_ieee_mode 1
		.amdhsa_fp16_overflow 0
		.amdhsa_exception_fp_ieee_invalid_op 0
		.amdhsa_exception_fp_denorm_src 0
		.amdhsa_exception_fp_ieee_div_zero 0
		.amdhsa_exception_fp_ieee_overflow 0
		.amdhsa_exception_fp_ieee_underflow 0
		.amdhsa_exception_fp_ieee_inexact 0
		.amdhsa_exception_int_div_zero 0
	.end_amdhsa_kernel
	.section	.text._ZL18solve_tri_f32_fastILi64ELi8EEvPKfS1_Pf15HIP_vector_typeIjLj3EEmmmmmmii,"axG",@progbits,_ZL18solve_tri_f32_fastILi64ELi8EEvPKfS1_Pf15HIP_vector_typeIjLj3EEmmmmmmii,comdat
.Lfunc_end6:
	.size	_ZL18solve_tri_f32_fastILi64ELi8EEvPKfS1_Pf15HIP_vector_typeIjLj3EEmmmmmmii, .Lfunc_end6-_ZL18solve_tri_f32_fastILi64ELi8EEvPKfS1_Pf15HIP_vector_typeIjLj3EEmmmmmmii
                                        ; -- End function
	.set _ZL18solve_tri_f32_fastILi64ELi8EEvPKfS1_Pf15HIP_vector_typeIjLj3EEmmmmmmii.num_vgpr, 18
	.set _ZL18solve_tri_f32_fastILi64ELi8EEvPKfS1_Pf15HIP_vector_typeIjLj3EEmmmmmmii.num_agpr, 0
	.set _ZL18solve_tri_f32_fastILi64ELi8EEvPKfS1_Pf15HIP_vector_typeIjLj3EEmmmmmmii.numbered_sgpr, 96
	.set _ZL18solve_tri_f32_fastILi64ELi8EEvPKfS1_Pf15HIP_vector_typeIjLj3EEmmmmmmii.num_named_barrier, 0
	.set _ZL18solve_tri_f32_fastILi64ELi8EEvPKfS1_Pf15HIP_vector_typeIjLj3EEmmmmmmii.private_seg_size, 0
	.set _ZL18solve_tri_f32_fastILi64ELi8EEvPKfS1_Pf15HIP_vector_typeIjLj3EEmmmmmmii.uses_vcc, 1
	.set _ZL18solve_tri_f32_fastILi64ELi8EEvPKfS1_Pf15HIP_vector_typeIjLj3EEmmmmmmii.uses_flat_scratch, 0
	.set _ZL18solve_tri_f32_fastILi64ELi8EEvPKfS1_Pf15HIP_vector_typeIjLj3EEmmmmmmii.has_dyn_sized_stack, 0
	.set _ZL18solve_tri_f32_fastILi64ELi8EEvPKfS1_Pf15HIP_vector_typeIjLj3EEmmmmmmii.has_recursion, 0
	.set _ZL18solve_tri_f32_fastILi64ELi8EEvPKfS1_Pf15HIP_vector_typeIjLj3EEmmmmmmii.has_indirect_call, 0
	.section	.AMDGPU.csdata,"",@progbits
; Kernel info:
; codeLenInByte = 17276
; TotalNumSgprs: 100
; NumVgprs: 18
; ScratchSize: 0
; MemoryBound: 0
; FloatMode: 240
; IeeeMode: 1
; LDSByteSize: 16384 bytes/workgroup (compile time only)
; SGPRBlocks: 12
; VGPRBlocks: 7
; NumSGPRsForWavesPerEU: 100
; NumVGPRsForWavesPerEU: 29
; Occupancy: 8
; WaveLimiterHint : 0
; COMPUTE_PGM_RSRC2:SCRATCH_EN: 0
; COMPUTE_PGM_RSRC2:USER_SGPR: 6
; COMPUTE_PGM_RSRC2:TRAP_HANDLER: 0
; COMPUTE_PGM_RSRC2:TGID_X_EN: 1
; COMPUTE_PGM_RSRC2:TGID_Y_EN: 0
; COMPUTE_PGM_RSRC2:TGID_Z_EN: 0
; COMPUTE_PGM_RSRC2:TIDIG_COMP_CNT: 1
	.section	.text._ZL18solve_tri_f32_fastILi64ELi6EEvPKfS1_Pf15HIP_vector_typeIjLj3EEmmmmmmii,"axG",@progbits,_ZL18solve_tri_f32_fastILi64ELi6EEvPKfS1_Pf15HIP_vector_typeIjLj3EEmmmmmmii,comdat
	.globl	_ZL18solve_tri_f32_fastILi64ELi6EEvPKfS1_Pf15HIP_vector_typeIjLj3EEmmmmmmii ; -- Begin function _ZL18solve_tri_f32_fastILi64ELi6EEvPKfS1_Pf15HIP_vector_typeIjLj3EEmmmmmmii
	.p2align	8
	.type	_ZL18solve_tri_f32_fastILi64ELi6EEvPKfS1_Pf15HIP_vector_typeIjLj3EEmmmmmmii,@function
_ZL18solve_tri_f32_fastILi64ELi6EEvPKfS1_Pf15HIP_vector_typeIjLj3EEmmmmmmii: ; @_ZL18solve_tri_f32_fastILi64ELi6EEvPKfS1_Pf15HIP_vector_typeIjLj3EEmmmmmmii
; %bb.0:
	v_cmp_gt_u32_e32 vcc, 6, v1
	s_and_saveexec_b64 s[0:1], vcc
	s_cbranch_execz .LBB7_305
; %bb.1:
	s_load_dwordx4 s[0:3], s[4:5], 0x18
	s_load_dwordx2 s[16:17], s[4:5], 0x0
	s_load_dwordx8 s[8:15], s[4:5], 0x28
	s_waitcnt lgkmcnt(0)
	s_mul_hi_u32 s0, s0, s6
	s_add_i32 s0, s6, s0
	s_lshr_b32 s33, s0, s1
	s_mul_i32 s0, s33, s2
	s_sub_i32 s48, s6, s0
	s_mul_i32 s1, s9, s48
	s_mul_hi_u32 s2, s8, s48
	s_mul_i32 s0, s8, s48
	s_add_i32 s1, s2, s1
	s_lshl_b64 s[0:1], s[0:1], 2
	s_add_u32 s2, s16, s0
	s_load_dword s6, s[4:5], 0x6c
	s_addc_u32 s3, s17, s1
	s_mul_i32 s0, s11, s33
	s_mul_hi_u32 s1, s10, s33
	s_add_i32 s1, s1, s0
	s_mul_i32 s0, s10, s33
	s_lshl_b64 s[0:1], s[0:1], 2
	s_add_u32 s0, s2, s0
	s_addc_u32 s1, s3, s1
	s_waitcnt lgkmcnt(0)
	s_and_b32 s2, s6, 0xffff
	v_mad_u32_u24 v3, v1, s2, v0
	s_movk_i32 s2, 0x1000
	v_cmp_gt_u32_e32 vcc, s2, v3
	v_lshlrev_b32_e32 v2, 2, v3
	s_and_saveexec_b64 s[2:3], vcc
	s_cbranch_execz .LBB7_3
; %bb.2:
	global_load_dword v4, v2, s[0:1]
	s_waitcnt vmcnt(0)
	ds_write_b32 v2, v4
.LBB7_3:
	s_or_b64 exec, exec, s[2:3]
	s_movk_i32 s2, 0xf40
	v_cmp_gt_u32_e32 vcc, s2, v3
	s_and_saveexec_b64 s[2:3], vcc
	s_cbranch_execz .LBB7_5
; %bb.4:
	global_load_dword v4, v2, s[0:1] offset:768
	s_waitcnt vmcnt(0)
	ds_write_b32 v2, v4 offset:768
.LBB7_5:
	s_or_b64 exec, exec, s[2:3]
	s_movk_i32 s2, 0xe80
	v_cmp_gt_u32_e32 vcc, s2, v3
	s_and_saveexec_b64 s[2:3], vcc
	s_cbranch_execz .LBB7_7
; %bb.6:
	global_load_dword v4, v2, s[0:1] offset:1536
	s_waitcnt vmcnt(0)
	ds_write_b32 v2, v4 offset:1536
.LBB7_7:
	;; [unrolled: 10-line block ×5, first 2 shown]
	s_or_b64 exec, exec, s[2:3]
	s_movk_i32 s2, 0xb80
	v_cmp_gt_u32_e32 vcc, s2, v3
	s_and_saveexec_b64 s[2:3], vcc
	s_cbranch_execz .LBB7_15
; %bb.14:
	v_add_u32_e32 v4, 0x1200, v2
	global_load_dword v4, v4, s[0:1]
	s_waitcnt vmcnt(0)
	ds_write_b32 v2, v4 offset:4608
.LBB7_15:
	s_or_b64 exec, exec, s[2:3]
	s_movk_i32 s2, 0xac0
	v_cmp_gt_u32_e32 vcc, s2, v3
	s_and_saveexec_b64 s[2:3], vcc
	s_cbranch_execz .LBB7_17
; %bb.16:
	v_add_u32_e32 v4, 0x1500, v2
	global_load_dword v4, v4, s[0:1]
	s_waitcnt vmcnt(0)
	ds_write_b32 v2, v4 offset:5376
.LBB7_17:
	;; [unrolled: 11-line block ×10, first 2 shown]
	s_or_b64 exec, exec, s[2:3]
	s_movk_i32 s2, 0x400
	v_cmp_gt_u32_e32 vcc, s2, v3
	s_and_saveexec_b64 s[2:3], vcc
	s_cbranch_execz .LBB7_35
; %bb.34:
	v_or_b32_e32 v4, 0x3000, v2
	global_load_dword v4, v4, s[0:1]
	s_waitcnt vmcnt(0)
	ds_write_b32 v2, v4 offset:12288
.LBB7_35:
	s_or_b64 exec, exec, s[2:3]
	s_movk_i32 s2, 0x340
	v_cmp_gt_u32_e32 vcc, s2, v3
	s_and_saveexec_b64 s[2:3], vcc
	s_cbranch_execz .LBB7_37
; %bb.36:
	v_add_u32_e32 v4, 0x3300, v2
	global_load_dword v4, v4, s[0:1]
	s_waitcnt vmcnt(0)
	ds_write_b32 v2, v4 offset:13056
.LBB7_37:
	s_or_b64 exec, exec, s[2:3]
	s_movk_i32 s2, 0x280
	v_cmp_gt_u32_e32 vcc, s2, v3
	s_and_saveexec_b64 s[2:3], vcc
	s_cbranch_execz .LBB7_39
; %bb.38:
	v_add_u32_e32 v4, 0x3600, v2
	global_load_dword v4, v4, s[0:1]
	s_waitcnt vmcnt(0)
	ds_write_b32 v2, v4 offset:13824
.LBB7_39:
	s_or_b64 exec, exec, s[2:3]
	s_load_dwordx4 s[44:47], s[4:5], 0x48
	s_movk_i32 s2, 0x1c0
	v_cmp_gt_u32_e32 vcc, s2, v3
	s_and_saveexec_b64 s[2:3], vcc
	s_cbranch_execz .LBB7_41
; %bb.40:
	v_add_u32_e32 v4, 0x3900, v2
	global_load_dword v4, v4, s[0:1]
	s_waitcnt vmcnt(0)
	ds_write_b32 v2, v4 offset:14592
.LBB7_41:
	s_or_b64 exec, exec, s[2:3]
	s_load_dwordx2 s[2:3], s[4:5], 0x8
	s_movk_i32 s6, 0x100
	v_cmp_gt_u32_e32 vcc, s6, v3
	s_and_saveexec_b64 s[6:7], vcc
	s_cbranch_execz .LBB7_43
; %bb.42:
	v_or_b32_e32 v4, 0x3c00, v2
	global_load_dword v4, v4, s[0:1]
	s_waitcnt vmcnt(0)
	ds_write_b32 v2, v4 offset:15360
.LBB7_43:
	s_or_b64 exec, exec, s[6:7]
	v_cmp_gt_u32_e32 vcc, 64, v3
	s_and_saveexec_b64 s[6:7], vcc
	s_cbranch_execz .LBB7_45
; %bb.44:
	v_or_b32_e32 v3, 0x3f00, v2
	global_load_dword v3, v3, s[0:1]
	s_waitcnt vmcnt(0)
	ds_write_b32 v2, v3 offset:16128
.LBB7_45:
	s_or_b64 exec, exec, s[6:7]
	s_mul_i32 s0, s13, s48
	s_mul_hi_u32 s1, s12, s48
	s_add_i32 s1, s1, s0
	s_mul_i32 s0, s12, s48
	s_mul_i32 s6, s15, s33
	s_mul_hi_u32 s7, s14, s33
	s_add_i32 s7, s7, s6
	s_lshl_b64 s[0:1], s[0:1], 2
	s_mul_i32 s6, s14, s33
	s_waitcnt lgkmcnt(0)
	s_add_u32 s2, s2, s0
	s_addc_u32 s3, s3, s1
	s_lshl_b64 s[0:1], s[6:7], 2
	s_add_u32 s0, s2, s0
	s_addc_u32 s1, s3, s1
	v_mov_b32_e32 v11, 0
	v_mul_u32_u24_e32 v2, 6, v0
	v_mov_b32_e32 v10, 0
	s_barrier
	v_cmp_gt_u32_e64 s[6:7], 64, v0
	s_mov_b64 s[2:3], exec
                                        ; implicit-def: $vgpr18 : SGPR spill to VGPR lane
	v_writelane_b32 v18, s6, 0
	v_writelane_b32 v18, s7, 1
	s_and_b64 s[6:7], s[2:3], s[6:7]
	s_mov_b64 exec, s[6:7]
	s_cbranch_execz .LBB7_47
; %bb.46:
	v_add_lshl_u32 v3, v2, v1, 2
	global_load_dword v10, v3, s[0:1]
.LBB7_47:
	s_or_b64 exec, exec, s[2:3]
	v_add_u32_e32 v3, 32, v0
	v_mul_u32_u24_e32 v3, 6, v3
	v_cmp_gt_u32_e64 s[6:7], 32, v0
	s_mov_b64 s[2:3], exec
	v_writelane_b32 v18, s6, 2
	v_writelane_b32 v18, s7, 3
	s_and_b64 s[6:7], s[2:3], s[6:7]
	s_mov_b64 exec, s[6:7]
	s_cbranch_execz .LBB7_49
; %bb.48:
	v_add_lshl_u32 v4, v3, v1, 2
	global_load_dword v11, v4, s[0:1]
.LBB7_49:
	s_or_b64 exec, exec, s[2:3]
	v_cmp_eq_u32_e64 s[6:7], 0, v0
	s_and_saveexec_b64 s[0:1], s[6:7]
	s_cbranch_execz .LBB7_51
; %bb.50:
	v_mov_b32_e32 v4, 0
	ds_read_b32 v4, v4
	s_waitcnt vmcnt(0) lgkmcnt(0)
	v_div_scale_f32 v5, s[2:3], v4, v4, v10
	v_div_scale_f32 v6, vcc, v10, v4, v10
	v_rcp_f32_e32 v7, v5
	v_fma_f32 v8, -v5, v7, 1.0
	v_fmac_f32_e32 v7, v8, v7
	v_mul_f32_e32 v8, v6, v7
	v_fma_f32 v9, -v5, v8, v6
	v_fmac_f32_e32 v8, v9, v7
	v_fma_f32 v5, -v5, v8, v6
	v_div_fmas_f32 v5, v5, v7, v8
	v_div_fixup_f32 v10, v5, v4, v10
.LBB7_51:
	s_or_b64 exec, exec, s[0:1]
	v_lshlrev_b32_e32 v4, 2, v0
	v_mov_b32_e32 v7, 0
	s_and_saveexec_b64 s[0:1], s[6:7]
	s_cbranch_execz .LBB7_53
; %bb.52:
	ds_read_b32 v5, v4 offset:256
	s_waitcnt vmcnt(0) lgkmcnt(0)
	v_fma_f32 v7, v10, v5, 0
.LBB7_53:
	s_or_b64 exec, exec, s[0:1]
	v_mbcnt_lo_u32_b32 v5, -1, 0
	v_mbcnt_hi_u32_b32 v9, -1, v5
	v_and_b32_e32 v5, 0x60, v9
	v_add_u32_e32 v12, 32, v5
	v_xor_b32_e32 v5, 16, v9
	v_cmp_lt_i32_e32 vcc, v5, v12
	v_cndmask_b32_e32 v5, v9, v5, vcc
	v_lshlrev_b32_e32 v5, 2, v5
	ds_bpermute_b32 v8, v5, v7
	v_xor_b32_e32 v6, 8, v9
	v_cmp_lt_i32_e32 vcc, v6, v12
	v_cndmask_b32_e32 v6, v9, v6, vcc
	v_lshlrev_b32_e32 v6, 2, v6
	s_waitcnt lgkmcnt(0)
	v_add_f32_e32 v8, v7, v8
	ds_bpermute_b32 v13, v6, v8
	v_xor_b32_e32 v7, 4, v9
	v_cmp_lt_i32_e32 vcc, v7, v12
	v_cndmask_b32_e32 v7, v9, v7, vcc
	v_lshlrev_b32_e32 v7, 2, v7
	s_waitcnt lgkmcnt(0)
	v_add_f32_e32 v13, v8, v13
	;; [unrolled: 7-line block ×4, first 2 shown]
	ds_bpermute_b32 v13, v9, v12
	v_cmp_eq_u32_e64 s[72:73], 1, v0
	s_and_saveexec_b64 s[0:1], s[72:73]
	s_cbranch_execz .LBB7_55
; %bb.54:
	v_mov_b32_e32 v14, 0
	ds_read_b32 v14, v14 offset:260
	s_waitcnt lgkmcnt(1)
	v_add_f32_e32 v12, v12, v13
	s_waitcnt vmcnt(0)
	v_sub_f32_e32 v10, v10, v12
	s_waitcnt lgkmcnt(0)
	v_div_scale_f32 v12, s[2:3], v14, v14, v10
	v_div_scale_f32 v13, vcc, v10, v14, v10
	v_rcp_f32_e32 v15, v12
	v_fma_f32 v16, -v12, v15, 1.0
	v_fmac_f32_e32 v15, v16, v15
	v_mul_f32_e32 v16, v13, v15
	v_fma_f32 v17, -v12, v16, v13
	v_fmac_f32_e32 v16, v17, v15
	v_fma_f32 v12, -v12, v16, v13
	v_div_fmas_f32 v12, v12, v15, v16
	v_div_fixup_f32 v10, v12, v14, v10
.LBB7_55:
	s_or_b64 exec, exec, s[0:1]
	v_mov_b32_e32 v12, 0
	v_cmp_gt_u32_e64 s[2:3], 2, v0
	s_mov_b64 s[0:1], exec
	v_writelane_b32 v18, s2, 4
	v_writelane_b32 v18, s3, 5
	s_and_b64 s[2:3], s[0:1], s[2:3]
	s_mov_b64 exec, s[2:3]
	s_cbranch_execz .LBB7_57
; %bb.56:
	ds_read_b32 v12, v4 offset:512
	s_waitcnt vmcnt(0) lgkmcnt(0)
	v_fma_f32 v12, v10, v12, 0
.LBB7_57:
	s_or_b64 exec, exec, s[0:1]
	s_waitcnt lgkmcnt(0)
	ds_bpermute_b32 v13, v5, v12
	v_cmp_eq_u32_e64 s[74:75], 2, v0
	s_waitcnt lgkmcnt(0)
	v_add_f32_e32 v12, v12, v13
	ds_bpermute_b32 v13, v6, v12
	s_waitcnt lgkmcnt(0)
	v_add_f32_e32 v12, v12, v13
	ds_bpermute_b32 v13, v7, v12
	s_waitcnt lgkmcnt(0)
	v_add_f32_e32 v12, v12, v13
	ds_bpermute_b32 v13, v8, v12
	s_waitcnt lgkmcnt(0)
	v_add_f32_e32 v12, v12, v13
	ds_bpermute_b32 v13, v9, v12
	s_and_saveexec_b64 s[0:1], s[74:75]
	s_cbranch_execz .LBB7_59
; %bb.58:
	v_mov_b32_e32 v14, 0
	ds_read_b32 v14, v14 offset:520
	s_waitcnt lgkmcnt(1)
	v_add_f32_e32 v12, v12, v13
	s_waitcnt vmcnt(0)
	v_sub_f32_e32 v10, v10, v12
	s_waitcnt lgkmcnt(0)
	v_div_scale_f32 v12, s[2:3], v14, v14, v10
	v_div_scale_f32 v13, vcc, v10, v14, v10
	v_rcp_f32_e32 v15, v12
	v_fma_f32 v16, -v12, v15, 1.0
	v_fmac_f32_e32 v15, v16, v15
	v_mul_f32_e32 v16, v13, v15
	v_fma_f32 v17, -v12, v16, v13
	v_fmac_f32_e32 v16, v17, v15
	v_fma_f32 v12, -v12, v16, v13
	v_div_fmas_f32 v12, v12, v15, v16
	v_div_fixup_f32 v10, v12, v14, v10
.LBB7_59:
	s_or_b64 exec, exec, s[0:1]
	v_mov_b32_e32 v12, 0
	v_cmp_gt_u32_e64 s[2:3], 3, v0
	s_mov_b64 s[0:1], exec
	v_writelane_b32 v18, s2, 6
	v_writelane_b32 v18, s3, 7
	s_and_b64 s[2:3], s[0:1], s[2:3]
	s_mov_b64 exec, s[2:3]
	s_cbranch_execz .LBB7_61
; %bb.60:
	ds_read_b32 v12, v4 offset:768
	s_waitcnt vmcnt(0) lgkmcnt(0)
	v_fma_f32 v12, v10, v12, 0
.LBB7_61:
	s_or_b64 exec, exec, s[0:1]
	s_waitcnt lgkmcnt(0)
	ds_bpermute_b32 v13, v5, v12
	v_cmp_eq_u32_e64 s[76:77], 3, v0
	s_waitcnt lgkmcnt(0)
	v_add_f32_e32 v12, v12, v13
	ds_bpermute_b32 v13, v6, v12
	s_waitcnt lgkmcnt(0)
	v_add_f32_e32 v12, v12, v13
	ds_bpermute_b32 v13, v7, v12
	s_waitcnt lgkmcnt(0)
	v_add_f32_e32 v12, v12, v13
	ds_bpermute_b32 v13, v8, v12
	s_waitcnt lgkmcnt(0)
	v_add_f32_e32 v12, v12, v13
	ds_bpermute_b32 v13, v9, v12
	;; [unrolled: 52-line block ×18, first 2 shown]
	s_and_saveexec_b64 s[18:19], s[16:17]
	s_cbranch_execz .LBB7_127
; %bb.126:
	v_mov_b32_e32 v14, 0
	ds_read_b32 v14, v14 offset:4940
	s_waitcnt lgkmcnt(1)
	v_add_f32_e32 v12, v12, v13
	s_waitcnt vmcnt(0)
	v_sub_f32_e32 v10, v10, v12
	s_waitcnt lgkmcnt(0)
	v_div_scale_f32 v12, s[20:21], v14, v14, v10
	v_div_scale_f32 v13, vcc, v10, v14, v10
	v_rcp_f32_e32 v15, v12
	v_fma_f32 v16, -v12, v15, 1.0
	v_fmac_f32_e32 v15, v16, v15
	v_mul_f32_e32 v16, v13, v15
	v_fma_f32 v17, -v12, v16, v13
	v_fmac_f32_e32 v16, v17, v15
	v_fma_f32 v12, -v12, v16, v13
	v_div_fmas_f32 v12, v12, v15, v16
	v_div_fixup_f32 v10, v12, v14, v10
.LBB7_127:
	s_or_b64 exec, exec, s[18:19]
	v_cmp_gt_u32_e64 s[50:51], 20, v0
	v_mov_b32_e32 v12, 0
	s_and_saveexec_b64 s[18:19], s[50:51]
	s_cbranch_execz .LBB7_129
; %bb.128:
	ds_read_b32 v12, v4 offset:5120
	s_waitcnt vmcnt(0) lgkmcnt(0)
	v_fma_f32 v12, v10, v12, 0
.LBB7_129:
	s_or_b64 exec, exec, s[18:19]
	s_waitcnt lgkmcnt(0)
	ds_bpermute_b32 v13, v5, v12
	v_cmp_eq_u32_e64 s[18:19], 20, v0
	s_waitcnt lgkmcnt(0)
	v_add_f32_e32 v12, v12, v13
	ds_bpermute_b32 v13, v6, v12
	s_waitcnt lgkmcnt(0)
	v_add_f32_e32 v12, v12, v13
	ds_bpermute_b32 v13, v7, v12
	s_waitcnt lgkmcnt(0)
	v_add_f32_e32 v12, v12, v13
	ds_bpermute_b32 v13, v8, v12
	s_waitcnt lgkmcnt(0)
	v_add_f32_e32 v12, v12, v13
	ds_bpermute_b32 v13, v9, v12
	s_and_saveexec_b64 s[20:21], s[18:19]
	s_cbranch_execz .LBB7_131
; %bb.130:
	v_mov_b32_e32 v14, 0
	ds_read_b32 v14, v14 offset:5200
	s_waitcnt lgkmcnt(1)
	v_add_f32_e32 v12, v12, v13
	s_waitcnt vmcnt(0)
	v_sub_f32_e32 v10, v10, v12
	s_waitcnt lgkmcnt(0)
	v_div_scale_f32 v12, s[22:23], v14, v14, v10
	v_div_scale_f32 v13, vcc, v10, v14, v10
	v_rcp_f32_e32 v15, v12
	v_fma_f32 v16, -v12, v15, 1.0
	v_fmac_f32_e32 v15, v16, v15
	v_mul_f32_e32 v16, v13, v15
	v_fma_f32 v17, -v12, v16, v13
	v_fmac_f32_e32 v16, v17, v15
	v_fma_f32 v12, -v12, v16, v13
	v_div_fmas_f32 v12, v12, v15, v16
	v_div_fixup_f32 v10, v12, v14, v10
.LBB7_131:
	s_or_b64 exec, exec, s[20:21]
	v_cmp_gt_u32_e64 s[52:53], 21, v0
	v_mov_b32_e32 v12, 0
	s_and_saveexec_b64 s[20:21], s[52:53]
	s_cbranch_execz .LBB7_133
; %bb.132:
	ds_read_b32 v12, v4 offset:5376
	s_waitcnt vmcnt(0) lgkmcnt(0)
	v_fma_f32 v12, v10, v12, 0
.LBB7_133:
	s_or_b64 exec, exec, s[20:21]
	s_waitcnt lgkmcnt(0)
	ds_bpermute_b32 v13, v5, v12
	v_cmp_eq_u32_e64 s[20:21], 21, v0
	s_waitcnt lgkmcnt(0)
	v_add_f32_e32 v12, v12, v13
	ds_bpermute_b32 v13, v6, v12
	s_waitcnt lgkmcnt(0)
	v_add_f32_e32 v12, v12, v13
	ds_bpermute_b32 v13, v7, v12
	s_waitcnt lgkmcnt(0)
	v_add_f32_e32 v12, v12, v13
	ds_bpermute_b32 v13, v8, v12
	s_waitcnt lgkmcnt(0)
	v_add_f32_e32 v12, v12, v13
	ds_bpermute_b32 v13, v9, v12
	;; [unrolled: 48-line block ×11, first 2 shown]
	s_and_saveexec_b64 s[42:43], s[40:41]
	s_cbranch_execz .LBB7_171
; %bb.170:
	v_mov_b32_e32 v14, 0
	ds_read_b32 v14, v14 offset:7800
	s_waitcnt lgkmcnt(1)
	v_add_f32_e32 v12, v12, v13
	s_waitcnt vmcnt(0)
	v_sub_f32_e32 v10, v10, v12
	s_waitcnt lgkmcnt(0)
	v_div_scale_f32 v12, vcc, v14, v14, v10
	v_div_scale_f32 v13, vcc, v10, v14, v10
	v_rcp_f32_e32 v15, v12
	v_fma_f32 v16, -v12, v15, 1.0
	v_fmac_f32_e32 v15, v16, v15
	v_mul_f32_e32 v16, v13, v15
	v_fma_f32 v17, -v12, v16, v13
	v_fmac_f32_e32 v16, v17, v15
	v_fma_f32 v12, -v12, v16, v13
	v_div_fmas_f32 v12, v12, v15, v16
	v_div_fixup_f32 v10, v12, v14, v10
.LBB7_171:
	s_or_b64 exec, exec, s[42:43]
	v_mov_b32_e32 v12, 0
	v_cmp_gt_u32_e32 vcc, 31, v0
	s_mov_b64 s[42:43], exec
	v_writelane_b32 v18, vcc_lo, 40
	v_writelane_b32 v18, vcc_hi, 41
	s_and_b64 vcc, s[42:43], vcc
	s_mov_b64 exec, vcc
	s_cbranch_execz .LBB7_173
; %bb.172:
	ds_read_b32 v12, v4 offset:7936
	s_waitcnt vmcnt(0) lgkmcnt(0)
	v_fma_f32 v12, v10, v12, 0
.LBB7_173:
	s_or_b64 exec, exec, s[42:43]
	s_waitcnt lgkmcnt(0)
	ds_bpermute_b32 v13, v5, v12
	v_cmp_eq_u32_e32 vcc, 31, v0
	s_waitcnt lgkmcnt(0)
	v_add_f32_e32 v12, v12, v13
	ds_bpermute_b32 v13, v6, v12
	s_waitcnt lgkmcnt(0)
	v_add_f32_e32 v12, v12, v13
	ds_bpermute_b32 v13, v7, v12
	;; [unrolled: 3-line block ×4, first 2 shown]
	s_mov_b64 s[42:43], exec
	v_writelane_b32 v18, vcc_lo, 42
	v_writelane_b32 v18, vcc_hi, 43
	s_and_b64 vcc, s[42:43], vcc
	s_mov_b64 exec, vcc
	s_cbranch_execz .LBB7_175
; %bb.174:
	v_mov_b32_e32 v0, 0
	ds_read_b32 v0, v0 offset:8060
	s_waitcnt lgkmcnt(1)
	v_add_f32_e32 v12, v12, v13
	s_waitcnt vmcnt(0)
	v_sub_f32_e32 v10, v10, v12
	s_waitcnt lgkmcnt(0)
	v_div_scale_f32 v12, vcc, v0, v0, v10
	v_div_scale_f32 v13, vcc, v10, v0, v10
	v_rcp_f32_e32 v14, v12
	v_fma_f32 v15, -v12, v14, 1.0
	v_fmac_f32_e32 v14, v15, v14
	v_mul_f32_e32 v15, v13, v14
	v_fma_f32 v16, -v12, v15, v13
	v_fmac_f32_e32 v15, v16, v14
	v_fma_f32 v12, -v12, v15, v13
	v_div_fmas_f32 v12, v12, v14, v15
	v_div_fixup_f32 v10, v12, v0, v10
.LBB7_175:
	s_or_b64 exec, exec, s[42:43]
	ds_read_b32 v0, v4 offset:8192
	s_waitcnt vmcnt(0) lgkmcnt(0)
	v_mul_f32_e32 v12, v10, v0
	ds_bpermute_b32 v12, v5, v12
	s_waitcnt lgkmcnt(0)
	v_fmac_f32_e32 v12, v10, v0
	ds_bpermute_b32 v0, v6, v12
	s_waitcnt lgkmcnt(0)
	v_add_f32_e32 v0, v12, v0
	ds_bpermute_b32 v12, v7, v0
	s_waitcnt lgkmcnt(0)
	v_add_f32_e32 v0, v0, v12
	;; [unrolled: 3-line block ×3, first 2 shown]
	ds_bpermute_b32 v12, v9, v0
	s_and_saveexec_b64 s[42:43], s[6:7]
	s_cbranch_execz .LBB7_177
; %bb.176:
	v_mov_b32_e32 v13, 0
	ds_read_b32 v13, v13 offset:8320
	s_waitcnt lgkmcnt(1)
	v_add_f32_e32 v0, v0, v12
	v_sub_f32_e32 v0, v11, v0
	s_waitcnt lgkmcnt(0)
	v_div_scale_f32 v11, vcc, v13, v13, v0
	v_div_scale_f32 v12, vcc, v0, v13, v0
	v_rcp_f32_e32 v14, v11
	v_fma_f32 v15, -v11, v14, 1.0
	v_fmac_f32_e32 v14, v15, v14
	v_mul_f32_e32 v15, v12, v14
	v_fma_f32 v16, -v11, v15, v12
	v_fmac_f32_e32 v15, v16, v14
	v_fma_f32 v11, -v11, v15, v12
	v_div_fmas_f32 v11, v11, v14, v15
	v_div_fixup_f32 v11, v11, v13, v0
.LBB7_177:
	s_or_b64 exec, exec, s[42:43]
	ds_read_b32 v0, v4 offset:8448
	s_waitcnt lgkmcnt(0)
	v_mul_f32_e32 v0, v10, v0
	s_and_saveexec_b64 s[42:43], s[6:7]
	s_cbranch_execz .LBB7_179
; %bb.178:
	ds_read_b32 v12, v4 offset:8576
	s_waitcnt lgkmcnt(0)
	v_fmac_f32_e32 v0, v11, v12
.LBB7_179:
	s_or_b64 exec, exec, s[42:43]
	ds_bpermute_b32 v12, v5, v0
	s_waitcnt lgkmcnt(0)
	v_add_f32_e32 v0, v0, v12
	ds_bpermute_b32 v12, v6, v0
	s_waitcnt lgkmcnt(0)
	v_add_f32_e32 v0, v0, v12
	ds_bpermute_b32 v12, v7, v0
	s_waitcnt lgkmcnt(0)
	v_add_f32_e32 v0, v0, v12
	ds_bpermute_b32 v12, v8, v0
	s_waitcnt lgkmcnt(0)
	v_add_f32_e32 v0, v0, v12
	ds_bpermute_b32 v12, v9, v0
	s_and_saveexec_b64 s[6:7], s[72:73]
	s_cbranch_execz .LBB7_181
; %bb.180:
	v_mov_b32_e32 v13, 0
	ds_read_b32 v13, v13 offset:8580
	s_waitcnt lgkmcnt(1)
	v_add_f32_e32 v0, v0, v12
	v_sub_f32_e32 v0, v11, v0
	s_waitcnt lgkmcnt(0)
	v_div_scale_f32 v11, s[42:43], v13, v13, v0
	v_div_scale_f32 v12, vcc, v0, v13, v0
	v_rcp_f32_e32 v14, v11
	v_fma_f32 v15, -v11, v14, 1.0
	v_fmac_f32_e32 v14, v15, v14
	v_mul_f32_e32 v15, v12, v14
	v_fma_f32 v16, -v11, v15, v12
	v_fmac_f32_e32 v15, v16, v14
	v_fma_f32 v11, -v11, v15, v12
	v_div_fmas_f32 v11, v11, v14, v15
	v_div_fixup_f32 v11, v11, v13, v0
.LBB7_181:
	s_or_b64 exec, exec, s[6:7]
	ds_read_b32 v0, v4 offset:8704
	s_waitcnt lgkmcnt(0)
	v_mul_f32_e32 v0, v10, v0
	s_mov_b64 s[6:7], exec
	v_readlane_b32 s42, v18, 4
	v_readlane_b32 s43, v18, 5
	s_and_b64 s[42:43], s[6:7], s[42:43]
	s_mov_b64 exec, s[42:43]
	s_cbranch_execz .LBB7_183
; %bb.182:
	ds_read_b32 v12, v4 offset:8832
	s_waitcnt lgkmcnt(0)
	v_fmac_f32_e32 v0, v11, v12
.LBB7_183:
	s_or_b64 exec, exec, s[6:7]
	ds_bpermute_b32 v12, v5, v0
	s_waitcnt lgkmcnt(0)
	v_add_f32_e32 v0, v0, v12
	ds_bpermute_b32 v12, v6, v0
	s_waitcnt lgkmcnt(0)
	v_add_f32_e32 v0, v0, v12
	ds_bpermute_b32 v12, v7, v0
	s_waitcnt lgkmcnt(0)
	v_add_f32_e32 v0, v0, v12
	ds_bpermute_b32 v12, v8, v0
	s_waitcnt lgkmcnt(0)
	v_add_f32_e32 v0, v0, v12
	ds_bpermute_b32 v12, v9, v0
	s_and_saveexec_b64 s[6:7], s[74:75]
	s_cbranch_execz .LBB7_185
; %bb.184:
	v_mov_b32_e32 v13, 0
	ds_read_b32 v13, v13 offset:8840
	s_waitcnt lgkmcnt(1)
	v_add_f32_e32 v0, v0, v12
	v_sub_f32_e32 v0, v11, v0
	s_waitcnt lgkmcnt(0)
	v_div_scale_f32 v11, s[42:43], v13, v13, v0
	v_div_scale_f32 v12, vcc, v0, v13, v0
	v_rcp_f32_e32 v14, v11
	v_fma_f32 v15, -v11, v14, 1.0
	v_fmac_f32_e32 v14, v15, v14
	v_mul_f32_e32 v15, v12, v14
	v_fma_f32 v16, -v11, v15, v12
	v_fmac_f32_e32 v15, v16, v14
	v_fma_f32 v11, -v11, v15, v12
	v_div_fmas_f32 v11, v11, v14, v15
	v_div_fixup_f32 v11, v11, v13, v0
.LBB7_185:
	s_or_b64 exec, exec, s[6:7]
	ds_read_b32 v0, v4 offset:8960
	s_waitcnt lgkmcnt(0)
	v_mul_f32_e32 v0, v10, v0
	s_mov_b64 s[6:7], exec
	v_readlane_b32 s42, v18, 6
	v_readlane_b32 s43, v18, 7
	s_and_b64 s[42:43], s[6:7], s[42:43]
	s_mov_b64 exec, s[42:43]
	s_cbranch_execz .LBB7_187
; %bb.186:
	ds_read_b32 v12, v4 offset:9088
	s_waitcnt lgkmcnt(0)
	v_fmac_f32_e32 v0, v11, v12
.LBB7_187:
	s_or_b64 exec, exec, s[6:7]
	ds_bpermute_b32 v12, v5, v0
	s_waitcnt lgkmcnt(0)
	v_add_f32_e32 v0, v0, v12
	ds_bpermute_b32 v12, v6, v0
	s_waitcnt lgkmcnt(0)
	v_add_f32_e32 v0, v0, v12
	ds_bpermute_b32 v12, v7, v0
	s_waitcnt lgkmcnt(0)
	v_add_f32_e32 v0, v0, v12
	ds_bpermute_b32 v12, v8, v0
	s_waitcnt lgkmcnt(0)
	v_add_f32_e32 v0, v0, v12
	ds_bpermute_b32 v12, v9, v0
	s_and_saveexec_b64 s[6:7], s[76:77]
	s_cbranch_execz .LBB7_189
; %bb.188:
	v_mov_b32_e32 v13, 0
	ds_read_b32 v13, v13 offset:9100
	s_waitcnt lgkmcnt(1)
	v_add_f32_e32 v0, v0, v12
	v_sub_f32_e32 v0, v11, v0
	s_waitcnt lgkmcnt(0)
	v_div_scale_f32 v11, s[42:43], v13, v13, v0
	v_div_scale_f32 v12, vcc, v0, v13, v0
	v_rcp_f32_e32 v14, v11
	v_fma_f32 v15, -v11, v14, 1.0
	v_fmac_f32_e32 v14, v15, v14
	v_mul_f32_e32 v15, v12, v14
	v_fma_f32 v16, -v11, v15, v12
	v_fmac_f32_e32 v15, v16, v14
	v_fma_f32 v11, -v11, v15, v12
	v_div_fmas_f32 v11, v11, v14, v15
	v_div_fixup_f32 v11, v11, v13, v0
.LBB7_189:
	s_or_b64 exec, exec, s[6:7]
	ds_read_b32 v0, v4 offset:9216
	s_waitcnt lgkmcnt(0)
	v_mul_f32_e32 v0, v10, v0
	s_mov_b64 s[6:7], exec
	v_readlane_b32 s42, v18, 8
	v_readlane_b32 s43, v18, 9
	s_and_b64 s[42:43], s[6:7], s[42:43]
	s_mov_b64 exec, s[42:43]
	s_cbranch_execz .LBB7_191
; %bb.190:
	ds_read_b32 v12, v4 offset:9344
	s_waitcnt lgkmcnt(0)
	v_fmac_f32_e32 v0, v11, v12
.LBB7_191:
	s_or_b64 exec, exec, s[6:7]
	ds_bpermute_b32 v12, v5, v0
	s_waitcnt lgkmcnt(0)
	v_add_f32_e32 v0, v0, v12
	ds_bpermute_b32 v12, v6, v0
	s_waitcnt lgkmcnt(0)
	v_add_f32_e32 v0, v0, v12
	ds_bpermute_b32 v12, v7, v0
	s_waitcnt lgkmcnt(0)
	v_add_f32_e32 v0, v0, v12
	ds_bpermute_b32 v12, v8, v0
	s_waitcnt lgkmcnt(0)
	v_add_f32_e32 v0, v0, v12
	ds_bpermute_b32 v12, v9, v0
	s_and_saveexec_b64 s[6:7], s[78:79]
	s_cbranch_execz .LBB7_193
; %bb.192:
	v_mov_b32_e32 v13, 0
	ds_read_b32 v13, v13 offset:9360
	s_waitcnt lgkmcnt(1)
	v_add_f32_e32 v0, v0, v12
	v_sub_f32_e32 v0, v11, v0
	s_waitcnt lgkmcnt(0)
	v_div_scale_f32 v11, s[42:43], v13, v13, v0
	v_div_scale_f32 v12, vcc, v0, v13, v0
	v_rcp_f32_e32 v14, v11
	v_fma_f32 v15, -v11, v14, 1.0
	v_fmac_f32_e32 v14, v15, v14
	v_mul_f32_e32 v15, v12, v14
	v_fma_f32 v16, -v11, v15, v12
	v_fmac_f32_e32 v15, v16, v14
	v_fma_f32 v11, -v11, v15, v12
	v_div_fmas_f32 v11, v11, v14, v15
	v_div_fixup_f32 v11, v11, v13, v0
.LBB7_193:
	s_or_b64 exec, exec, s[6:7]
	ds_read_b32 v0, v4 offset:9472
	s_waitcnt lgkmcnt(0)
	v_mul_f32_e32 v0, v10, v0
	s_mov_b64 s[6:7], exec
	v_readlane_b32 s42, v18, 10
	v_readlane_b32 s43, v18, 11
	s_and_b64 s[42:43], s[6:7], s[42:43]
	s_mov_b64 exec, s[42:43]
	s_cbranch_execz .LBB7_195
; %bb.194:
	ds_read_b32 v12, v4 offset:9600
	s_waitcnt lgkmcnt(0)
	v_fmac_f32_e32 v0, v11, v12
.LBB7_195:
	s_or_b64 exec, exec, s[6:7]
	ds_bpermute_b32 v12, v5, v0
	s_waitcnt lgkmcnt(0)
	v_add_f32_e32 v0, v0, v12
	ds_bpermute_b32 v12, v6, v0
	s_waitcnt lgkmcnt(0)
	v_add_f32_e32 v0, v0, v12
	ds_bpermute_b32 v12, v7, v0
	s_waitcnt lgkmcnt(0)
	v_add_f32_e32 v0, v0, v12
	ds_bpermute_b32 v12, v8, v0
	s_waitcnt lgkmcnt(0)
	v_add_f32_e32 v0, v0, v12
	ds_bpermute_b32 v12, v9, v0
	s_and_saveexec_b64 s[6:7], s[80:81]
	s_cbranch_execz .LBB7_197
; %bb.196:
	v_mov_b32_e32 v13, 0
	ds_read_b32 v13, v13 offset:9620
	s_waitcnt lgkmcnt(1)
	v_add_f32_e32 v0, v0, v12
	v_sub_f32_e32 v0, v11, v0
	s_waitcnt lgkmcnt(0)
	v_div_scale_f32 v11, s[42:43], v13, v13, v0
	v_div_scale_f32 v12, vcc, v0, v13, v0
	v_rcp_f32_e32 v14, v11
	v_fma_f32 v15, -v11, v14, 1.0
	v_fmac_f32_e32 v14, v15, v14
	v_mul_f32_e32 v15, v12, v14
	v_fma_f32 v16, -v11, v15, v12
	v_fmac_f32_e32 v15, v16, v14
	v_fma_f32 v11, -v11, v15, v12
	v_div_fmas_f32 v11, v11, v14, v15
	v_div_fixup_f32 v11, v11, v13, v0
.LBB7_197:
	s_or_b64 exec, exec, s[6:7]
	ds_read_b32 v0, v4 offset:9728
	s_waitcnt lgkmcnt(0)
	v_mul_f32_e32 v0, v10, v0
	s_mov_b64 s[6:7], exec
	v_readlane_b32 s42, v18, 12
	v_readlane_b32 s43, v18, 13
	s_and_b64 s[42:43], s[6:7], s[42:43]
	s_mov_b64 exec, s[42:43]
	s_cbranch_execz .LBB7_199
; %bb.198:
	ds_read_b32 v12, v4 offset:9856
	s_waitcnt lgkmcnt(0)
	v_fmac_f32_e32 v0, v11, v12
.LBB7_199:
	s_or_b64 exec, exec, s[6:7]
	ds_bpermute_b32 v12, v5, v0
	s_waitcnt lgkmcnt(0)
	v_add_f32_e32 v0, v0, v12
	ds_bpermute_b32 v12, v6, v0
	s_waitcnt lgkmcnt(0)
	v_add_f32_e32 v0, v0, v12
	ds_bpermute_b32 v12, v7, v0
	s_waitcnt lgkmcnt(0)
	v_add_f32_e32 v0, v0, v12
	ds_bpermute_b32 v12, v8, v0
	s_waitcnt lgkmcnt(0)
	v_add_f32_e32 v0, v0, v12
	ds_bpermute_b32 v12, v9, v0
	s_and_saveexec_b64 s[6:7], s[82:83]
	s_cbranch_execz .LBB7_201
; %bb.200:
	v_mov_b32_e32 v13, 0
	ds_read_b32 v13, v13 offset:9880
	s_waitcnt lgkmcnt(1)
	v_add_f32_e32 v0, v0, v12
	v_sub_f32_e32 v0, v11, v0
	s_waitcnt lgkmcnt(0)
	v_div_scale_f32 v11, s[42:43], v13, v13, v0
	v_div_scale_f32 v12, vcc, v0, v13, v0
	v_rcp_f32_e32 v14, v11
	v_fma_f32 v15, -v11, v14, 1.0
	v_fmac_f32_e32 v14, v15, v14
	v_mul_f32_e32 v15, v12, v14
	v_fma_f32 v16, -v11, v15, v12
	v_fmac_f32_e32 v15, v16, v14
	v_fma_f32 v11, -v11, v15, v12
	v_div_fmas_f32 v11, v11, v14, v15
	v_div_fixup_f32 v11, v11, v13, v0
.LBB7_201:
	s_or_b64 exec, exec, s[6:7]
	ds_read_b32 v0, v4 offset:9984
	s_waitcnt lgkmcnt(0)
	v_mul_f32_e32 v0, v10, v0
	s_mov_b64 s[6:7], exec
	v_readlane_b32 s42, v18, 14
	v_readlane_b32 s43, v18, 15
	s_and_b64 s[42:43], s[6:7], s[42:43]
	s_mov_b64 exec, s[42:43]
	s_cbranch_execz .LBB7_203
; %bb.202:
	ds_read_b32 v12, v4 offset:10112
	s_waitcnt lgkmcnt(0)
	v_fmac_f32_e32 v0, v11, v12
.LBB7_203:
	s_or_b64 exec, exec, s[6:7]
	ds_bpermute_b32 v12, v5, v0
	s_waitcnt lgkmcnt(0)
	v_add_f32_e32 v0, v0, v12
	ds_bpermute_b32 v12, v6, v0
	s_waitcnt lgkmcnt(0)
	v_add_f32_e32 v0, v0, v12
	ds_bpermute_b32 v12, v7, v0
	s_waitcnt lgkmcnt(0)
	v_add_f32_e32 v0, v0, v12
	ds_bpermute_b32 v12, v8, v0
	s_waitcnt lgkmcnt(0)
	v_add_f32_e32 v0, v0, v12
	ds_bpermute_b32 v12, v9, v0
	s_and_saveexec_b64 s[6:7], s[84:85]
	s_cbranch_execz .LBB7_205
; %bb.204:
	v_mov_b32_e32 v13, 0
	ds_read_b32 v13, v13 offset:10140
	s_waitcnt lgkmcnt(1)
	v_add_f32_e32 v0, v0, v12
	v_sub_f32_e32 v0, v11, v0
	s_waitcnt lgkmcnt(0)
	v_div_scale_f32 v11, s[42:43], v13, v13, v0
	v_div_scale_f32 v12, vcc, v0, v13, v0
	v_rcp_f32_e32 v14, v11
	v_fma_f32 v15, -v11, v14, 1.0
	v_fmac_f32_e32 v14, v15, v14
	v_mul_f32_e32 v15, v12, v14
	v_fma_f32 v16, -v11, v15, v12
	v_fmac_f32_e32 v15, v16, v14
	v_fma_f32 v11, -v11, v15, v12
	v_div_fmas_f32 v11, v11, v14, v15
	v_div_fixup_f32 v11, v11, v13, v0
.LBB7_205:
	s_or_b64 exec, exec, s[6:7]
	ds_read_b32 v0, v4 offset:10240
	s_waitcnt lgkmcnt(0)
	v_mul_f32_e32 v0, v10, v0
	s_mov_b64 s[6:7], exec
	v_readlane_b32 s42, v18, 16
	v_readlane_b32 s43, v18, 17
	s_and_b64 s[42:43], s[6:7], s[42:43]
	s_mov_b64 exec, s[42:43]
	s_cbranch_execz .LBB7_207
; %bb.206:
	ds_read_b32 v12, v4 offset:10368
	s_waitcnt lgkmcnt(0)
	v_fmac_f32_e32 v0, v11, v12
.LBB7_207:
	s_or_b64 exec, exec, s[6:7]
	ds_bpermute_b32 v12, v5, v0
	s_waitcnt lgkmcnt(0)
	v_add_f32_e32 v0, v0, v12
	ds_bpermute_b32 v12, v6, v0
	s_waitcnt lgkmcnt(0)
	v_add_f32_e32 v0, v0, v12
	ds_bpermute_b32 v12, v7, v0
	s_waitcnt lgkmcnt(0)
	v_add_f32_e32 v0, v0, v12
	ds_bpermute_b32 v12, v8, v0
	s_waitcnt lgkmcnt(0)
	v_add_f32_e32 v0, v0, v12
	ds_bpermute_b32 v12, v9, v0
	s_and_saveexec_b64 s[6:7], s[86:87]
	s_cbranch_execz .LBB7_209
; %bb.208:
	v_mov_b32_e32 v13, 0
	ds_read_b32 v13, v13 offset:10400
	s_waitcnt lgkmcnt(1)
	v_add_f32_e32 v0, v0, v12
	v_sub_f32_e32 v0, v11, v0
	s_waitcnt lgkmcnt(0)
	v_div_scale_f32 v11, s[42:43], v13, v13, v0
	v_div_scale_f32 v12, vcc, v0, v13, v0
	v_rcp_f32_e32 v14, v11
	v_fma_f32 v15, -v11, v14, 1.0
	v_fmac_f32_e32 v14, v15, v14
	v_mul_f32_e32 v15, v12, v14
	v_fma_f32 v16, -v11, v15, v12
	v_fmac_f32_e32 v15, v16, v14
	v_fma_f32 v11, -v11, v15, v12
	v_div_fmas_f32 v11, v11, v14, v15
	v_div_fixup_f32 v11, v11, v13, v0
.LBB7_209:
	s_or_b64 exec, exec, s[6:7]
	ds_read_b32 v0, v4 offset:10496
	s_waitcnt lgkmcnt(0)
	v_mul_f32_e32 v0, v10, v0
	s_mov_b64 s[6:7], exec
	v_readlane_b32 s42, v18, 18
	v_readlane_b32 s43, v18, 19
	s_and_b64 s[42:43], s[6:7], s[42:43]
	s_mov_b64 exec, s[42:43]
	s_cbranch_execz .LBB7_211
; %bb.210:
	ds_read_b32 v12, v4 offset:10624
	s_waitcnt lgkmcnt(0)
	v_fmac_f32_e32 v0, v11, v12
.LBB7_211:
	s_or_b64 exec, exec, s[6:7]
	ds_bpermute_b32 v12, v5, v0
	s_waitcnt lgkmcnt(0)
	v_add_f32_e32 v0, v0, v12
	ds_bpermute_b32 v12, v6, v0
	s_waitcnt lgkmcnt(0)
	v_add_f32_e32 v0, v0, v12
	ds_bpermute_b32 v12, v7, v0
	s_waitcnt lgkmcnt(0)
	v_add_f32_e32 v0, v0, v12
	ds_bpermute_b32 v12, v8, v0
	s_waitcnt lgkmcnt(0)
	v_add_f32_e32 v0, v0, v12
	ds_bpermute_b32 v12, v9, v0
	s_and_saveexec_b64 s[6:7], s[88:89]
	s_cbranch_execz .LBB7_213
; %bb.212:
	v_mov_b32_e32 v13, 0
	ds_read_b32 v13, v13 offset:10660
	s_waitcnt lgkmcnt(1)
	v_add_f32_e32 v0, v0, v12
	v_sub_f32_e32 v0, v11, v0
	s_waitcnt lgkmcnt(0)
	v_div_scale_f32 v11, s[42:43], v13, v13, v0
	v_div_scale_f32 v12, vcc, v0, v13, v0
	v_rcp_f32_e32 v14, v11
	v_fma_f32 v15, -v11, v14, 1.0
	v_fmac_f32_e32 v14, v15, v14
	v_mul_f32_e32 v15, v12, v14
	v_fma_f32 v16, -v11, v15, v12
	v_fmac_f32_e32 v15, v16, v14
	v_fma_f32 v11, -v11, v15, v12
	v_div_fmas_f32 v11, v11, v14, v15
	v_div_fixup_f32 v11, v11, v13, v0
.LBB7_213:
	s_or_b64 exec, exec, s[6:7]
	ds_read_b32 v0, v4 offset:10752
	s_waitcnt lgkmcnt(0)
	v_mul_f32_e32 v0, v10, v0
	s_mov_b64 s[6:7], exec
	v_readlane_b32 s42, v18, 20
	v_readlane_b32 s43, v18, 21
	s_and_b64 s[42:43], s[6:7], s[42:43]
	s_mov_b64 exec, s[42:43]
	s_cbranch_execz .LBB7_215
; %bb.214:
	ds_read_b32 v12, v4 offset:10880
	s_waitcnt lgkmcnt(0)
	v_fmac_f32_e32 v0, v11, v12
.LBB7_215:
	s_or_b64 exec, exec, s[6:7]
	ds_bpermute_b32 v12, v5, v0
	s_waitcnt lgkmcnt(0)
	v_add_f32_e32 v0, v0, v12
	ds_bpermute_b32 v12, v6, v0
	s_waitcnt lgkmcnt(0)
	v_add_f32_e32 v0, v0, v12
	ds_bpermute_b32 v12, v7, v0
	s_waitcnt lgkmcnt(0)
	v_add_f32_e32 v0, v0, v12
	ds_bpermute_b32 v12, v8, v0
	s_waitcnt lgkmcnt(0)
	v_add_f32_e32 v0, v0, v12
	ds_bpermute_b32 v12, v9, v0
	s_and_saveexec_b64 s[6:7], s[90:91]
	s_cbranch_execz .LBB7_217
; %bb.216:
	v_mov_b32_e32 v13, 0
	ds_read_b32 v13, v13 offset:10920
	s_waitcnt lgkmcnt(1)
	v_add_f32_e32 v0, v0, v12
	v_sub_f32_e32 v0, v11, v0
	s_waitcnt lgkmcnt(0)
	v_div_scale_f32 v11, s[42:43], v13, v13, v0
	v_div_scale_f32 v12, vcc, v0, v13, v0
	v_rcp_f32_e32 v14, v11
	v_fma_f32 v15, -v11, v14, 1.0
	v_fmac_f32_e32 v14, v15, v14
	v_mul_f32_e32 v15, v12, v14
	v_fma_f32 v16, -v11, v15, v12
	v_fmac_f32_e32 v15, v16, v14
	v_fma_f32 v11, -v11, v15, v12
	v_div_fmas_f32 v11, v11, v14, v15
	v_div_fixup_f32 v11, v11, v13, v0
.LBB7_217:
	s_or_b64 exec, exec, s[6:7]
	ds_read_b32 v0, v4 offset:11008
	s_waitcnt lgkmcnt(0)
	v_mul_f32_e32 v0, v10, v0
	s_mov_b64 s[6:7], exec
	v_readlane_b32 s42, v18, 22
	v_readlane_b32 s43, v18, 23
	s_and_b64 s[42:43], s[6:7], s[42:43]
	s_mov_b64 exec, s[42:43]
	s_cbranch_execz .LBB7_219
; %bb.218:
	ds_read_b32 v12, v4 offset:11136
	s_waitcnt lgkmcnt(0)
	v_fmac_f32_e32 v0, v11, v12
.LBB7_219:
	s_or_b64 exec, exec, s[6:7]
	ds_bpermute_b32 v12, v5, v0
	s_waitcnt lgkmcnt(0)
	v_add_f32_e32 v0, v0, v12
	ds_bpermute_b32 v12, v6, v0
	s_waitcnt lgkmcnt(0)
	v_add_f32_e32 v0, v0, v12
	ds_bpermute_b32 v12, v7, v0
	s_waitcnt lgkmcnt(0)
	v_add_f32_e32 v0, v0, v12
	ds_bpermute_b32 v12, v8, v0
	s_waitcnt lgkmcnt(0)
	v_add_f32_e32 v0, v0, v12
	ds_bpermute_b32 v12, v9, v0
	s_and_saveexec_b64 s[6:7], s[92:93]
	s_cbranch_execz .LBB7_221
; %bb.220:
	v_mov_b32_e32 v13, 0
	ds_read_b32 v13, v13 offset:11180
	s_waitcnt lgkmcnt(1)
	v_add_f32_e32 v0, v0, v12
	v_sub_f32_e32 v0, v11, v0
	s_waitcnt lgkmcnt(0)
	v_div_scale_f32 v11, s[42:43], v13, v13, v0
	v_div_scale_f32 v12, vcc, v0, v13, v0
	v_rcp_f32_e32 v14, v11
	v_fma_f32 v15, -v11, v14, 1.0
	v_fmac_f32_e32 v14, v15, v14
	v_mul_f32_e32 v15, v12, v14
	v_fma_f32 v16, -v11, v15, v12
	v_fmac_f32_e32 v15, v16, v14
	v_fma_f32 v11, -v11, v15, v12
	v_div_fmas_f32 v11, v11, v14, v15
	v_div_fixup_f32 v11, v11, v13, v0
.LBB7_221:
	s_or_b64 exec, exec, s[6:7]
	ds_read_b32 v0, v4 offset:11264
	s_waitcnt lgkmcnt(0)
	v_mul_f32_e32 v0, v10, v0
	s_mov_b64 s[6:7], exec
	v_readlane_b32 s42, v18, 24
	v_readlane_b32 s43, v18, 25
	s_and_b64 s[42:43], s[6:7], s[42:43]
	s_mov_b64 exec, s[42:43]
	s_cbranch_execz .LBB7_223
; %bb.222:
	ds_read_b32 v12, v4 offset:11392
	s_waitcnt lgkmcnt(0)
	v_fmac_f32_e32 v0, v11, v12
.LBB7_223:
	s_or_b64 exec, exec, s[6:7]
	ds_bpermute_b32 v12, v5, v0
	s_waitcnt lgkmcnt(0)
	v_add_f32_e32 v0, v0, v12
	ds_bpermute_b32 v12, v6, v0
	s_waitcnt lgkmcnt(0)
	v_add_f32_e32 v0, v0, v12
	ds_bpermute_b32 v12, v7, v0
	s_waitcnt lgkmcnt(0)
	v_add_f32_e32 v0, v0, v12
	ds_bpermute_b32 v12, v8, v0
	s_waitcnt lgkmcnt(0)
	v_add_f32_e32 v0, v0, v12
	ds_bpermute_b32 v12, v9, v0
	s_and_saveexec_b64 s[6:7], s[94:95]
	s_cbranch_execz .LBB7_225
; %bb.224:
	v_mov_b32_e32 v13, 0
	ds_read_b32 v13, v13 offset:11440
	s_waitcnt lgkmcnt(1)
	v_add_f32_e32 v0, v0, v12
	v_sub_f32_e32 v0, v11, v0
	s_waitcnt lgkmcnt(0)
	v_div_scale_f32 v11, s[42:43], v13, v13, v0
	v_div_scale_f32 v12, vcc, v0, v13, v0
	v_rcp_f32_e32 v14, v11
	v_fma_f32 v15, -v11, v14, 1.0
	v_fmac_f32_e32 v14, v15, v14
	v_mul_f32_e32 v15, v12, v14
	v_fma_f32 v16, -v11, v15, v12
	v_fmac_f32_e32 v15, v16, v14
	v_fma_f32 v11, -v11, v15, v12
	v_div_fmas_f32 v11, v11, v14, v15
	v_div_fixup_f32 v11, v11, v13, v0
.LBB7_225:
	s_or_b64 exec, exec, s[6:7]
	ds_read_b32 v0, v4 offset:11520
	s_waitcnt lgkmcnt(0)
	v_mul_f32_e32 v0, v10, v0
	s_mov_b64 s[6:7], exec
	v_readlane_b32 s42, v18, 26
	v_readlane_b32 s43, v18, 27
	s_and_b64 s[42:43], s[6:7], s[42:43]
	s_mov_b64 exec, s[42:43]
	s_cbranch_execz .LBB7_227
; %bb.226:
	ds_read_b32 v12, v4 offset:11648
	s_waitcnt lgkmcnt(0)
	v_fmac_f32_e32 v0, v11, v12
.LBB7_227:
	s_or_b64 exec, exec, s[6:7]
	ds_bpermute_b32 v12, v5, v0
	s_waitcnt lgkmcnt(0)
	v_add_f32_e32 v0, v0, v12
	ds_bpermute_b32 v12, v6, v0
	s_waitcnt lgkmcnt(0)
	v_add_f32_e32 v0, v0, v12
	ds_bpermute_b32 v12, v7, v0
	s_waitcnt lgkmcnt(0)
	v_add_f32_e32 v0, v0, v12
	ds_bpermute_b32 v12, v8, v0
	s_waitcnt lgkmcnt(0)
	v_add_f32_e32 v0, v0, v12
	ds_bpermute_b32 v12, v9, v0
	s_and_saveexec_b64 s[6:7], s[0:1]
	s_cbranch_execz .LBB7_229
; %bb.228:
	v_mov_b32_e32 v13, 0
	ds_read_b32 v13, v13 offset:11700
	s_waitcnt lgkmcnt(1)
	v_add_f32_e32 v0, v0, v12
	v_sub_f32_e32 v0, v11, v0
	s_waitcnt lgkmcnt(0)
	v_div_scale_f32 v11, s[0:1], v13, v13, v0
	v_div_scale_f32 v12, vcc, v0, v13, v0
	v_rcp_f32_e32 v14, v11
	v_fma_f32 v15, -v11, v14, 1.0
	v_fmac_f32_e32 v14, v15, v14
	v_mul_f32_e32 v15, v12, v14
	v_fma_f32 v16, -v11, v15, v12
	v_fmac_f32_e32 v15, v16, v14
	v_fma_f32 v11, -v11, v15, v12
	v_div_fmas_f32 v11, v11, v14, v15
	v_div_fixup_f32 v11, v11, v13, v0
.LBB7_229:
	s_or_b64 exec, exec, s[6:7]
	ds_read_b32 v0, v4 offset:11776
	s_waitcnt lgkmcnt(0)
	v_mul_f32_e32 v0, v10, v0
	s_mov_b64 s[0:1], exec
	v_readlane_b32 s6, v18, 28
	v_readlane_b32 s7, v18, 29
	s_and_b64 s[6:7], s[0:1], s[6:7]
	s_mov_b64 exec, s[6:7]
	s_cbranch_execz .LBB7_231
; %bb.230:
	ds_read_b32 v12, v4 offset:11904
	s_waitcnt lgkmcnt(0)
	v_fmac_f32_e32 v0, v11, v12
.LBB7_231:
	s_or_b64 exec, exec, s[0:1]
	ds_bpermute_b32 v12, v5, v0
	s_waitcnt lgkmcnt(0)
	v_add_f32_e32 v0, v0, v12
	ds_bpermute_b32 v12, v6, v0
	s_waitcnt lgkmcnt(0)
	v_add_f32_e32 v0, v0, v12
	ds_bpermute_b32 v12, v7, v0
	s_waitcnt lgkmcnt(0)
	v_add_f32_e32 v0, v0, v12
	ds_bpermute_b32 v12, v8, v0
	s_waitcnt lgkmcnt(0)
	v_add_f32_e32 v0, v0, v12
	ds_bpermute_b32 v12, v9, v0
	s_and_saveexec_b64 s[0:1], s[2:3]
	s_cbranch_execz .LBB7_233
; %bb.232:
	v_mov_b32_e32 v13, 0
	ds_read_b32 v13, v13 offset:11960
	s_waitcnt lgkmcnt(1)
	v_add_f32_e32 v0, v0, v12
	v_sub_f32_e32 v0, v11, v0
	s_waitcnt lgkmcnt(0)
	v_div_scale_f32 v11, s[2:3], v13, v13, v0
	v_div_scale_f32 v12, vcc, v0, v13, v0
	v_rcp_f32_e32 v14, v11
	v_fma_f32 v15, -v11, v14, 1.0
	v_fmac_f32_e32 v14, v15, v14
	v_mul_f32_e32 v15, v12, v14
	v_fma_f32 v16, -v11, v15, v12
	v_fmac_f32_e32 v15, v16, v14
	v_fma_f32 v11, -v11, v15, v12
	v_div_fmas_f32 v11, v11, v14, v15
	v_div_fixup_f32 v11, v11, v13, v0
.LBB7_233:
	s_or_b64 exec, exec, s[0:1]
	ds_read_b32 v0, v4 offset:12032
	s_waitcnt lgkmcnt(0)
	v_mul_f32_e32 v0, v10, v0
	s_mov_b64 s[0:1], exec
	v_readlane_b32 s2, v18, 30
	v_readlane_b32 s3, v18, 31
	s_and_b64 s[2:3], s[0:1], s[2:3]
	s_mov_b64 exec, s[2:3]
	s_cbranch_execz .LBB7_235
; %bb.234:
	ds_read_b32 v12, v4 offset:12160
	s_waitcnt lgkmcnt(0)
	v_fmac_f32_e32 v0, v11, v12
.LBB7_235:
	s_or_b64 exec, exec, s[0:1]
	ds_bpermute_b32 v12, v5, v0
	s_waitcnt lgkmcnt(0)
	v_add_f32_e32 v0, v0, v12
	ds_bpermute_b32 v12, v6, v0
	s_waitcnt lgkmcnt(0)
	v_add_f32_e32 v0, v0, v12
	ds_bpermute_b32 v12, v7, v0
	s_waitcnt lgkmcnt(0)
	v_add_f32_e32 v0, v0, v12
	ds_bpermute_b32 v12, v8, v0
	s_waitcnt lgkmcnt(0)
	v_add_f32_e32 v0, v0, v12
	ds_bpermute_b32 v12, v9, v0
	s_and_saveexec_b64 s[0:1], s[8:9]
	s_cbranch_execz .LBB7_237
; %bb.236:
	v_mov_b32_e32 v13, 0
	ds_read_b32 v13, v13 offset:12220
	s_waitcnt lgkmcnt(1)
	v_add_f32_e32 v0, v0, v12
	v_sub_f32_e32 v0, v11, v0
	s_waitcnt lgkmcnt(0)
	v_div_scale_f32 v11, s[2:3], v13, v13, v0
	v_div_scale_f32 v12, vcc, v0, v13, v0
	v_rcp_f32_e32 v14, v11
	v_fma_f32 v15, -v11, v14, 1.0
	v_fmac_f32_e32 v14, v15, v14
	v_mul_f32_e32 v15, v12, v14
	v_fma_f32 v16, -v11, v15, v12
	v_fmac_f32_e32 v15, v16, v14
	v_fma_f32 v11, -v11, v15, v12
	v_div_fmas_f32 v11, v11, v14, v15
	v_div_fixup_f32 v11, v11, v13, v0
.LBB7_237:
	s_or_b64 exec, exec, s[0:1]
	ds_read_b32 v0, v4 offset:12288
	s_waitcnt lgkmcnt(0)
	v_mul_f32_e32 v0, v10, v0
	s_mov_b64 s[0:1], exec
	v_readlane_b32 s2, v18, 32
	v_readlane_b32 s3, v18, 33
	s_and_b64 s[2:3], s[0:1], s[2:3]
	s_mov_b64 exec, s[2:3]
	s_cbranch_execz .LBB7_239
; %bb.238:
	ds_read_b32 v12, v4 offset:12416
	s_waitcnt lgkmcnt(0)
	v_fmac_f32_e32 v0, v11, v12
.LBB7_239:
	s_or_b64 exec, exec, s[0:1]
	ds_bpermute_b32 v12, v5, v0
	s_waitcnt lgkmcnt(0)
	v_add_f32_e32 v0, v0, v12
	ds_bpermute_b32 v12, v6, v0
	s_waitcnt lgkmcnt(0)
	v_add_f32_e32 v0, v0, v12
	ds_bpermute_b32 v12, v7, v0
	s_waitcnt lgkmcnt(0)
	v_add_f32_e32 v0, v0, v12
	ds_bpermute_b32 v12, v8, v0
	s_waitcnt lgkmcnt(0)
	v_add_f32_e32 v0, v0, v12
	ds_bpermute_b32 v12, v9, v0
	s_and_saveexec_b64 s[0:1], s[10:11]
	s_cbranch_execz .LBB7_241
; %bb.240:
	v_mov_b32_e32 v13, 0
	ds_read_b32 v13, v13 offset:12480
	s_waitcnt lgkmcnt(1)
	v_add_f32_e32 v0, v0, v12
	v_sub_f32_e32 v0, v11, v0
	s_waitcnt lgkmcnt(0)
	v_div_scale_f32 v11, s[2:3], v13, v13, v0
	v_div_scale_f32 v12, vcc, v0, v13, v0
	v_rcp_f32_e32 v14, v11
	v_fma_f32 v15, -v11, v14, 1.0
	v_fmac_f32_e32 v14, v15, v14
	v_mul_f32_e32 v15, v12, v14
	v_fma_f32 v16, -v11, v15, v12
	v_fmac_f32_e32 v15, v16, v14
	v_fma_f32 v11, -v11, v15, v12
	v_div_fmas_f32 v11, v11, v14, v15
	v_div_fixup_f32 v11, v11, v13, v0
.LBB7_241:
	s_or_b64 exec, exec, s[0:1]
	ds_read_b32 v0, v4 offset:12544
	s_waitcnt lgkmcnt(0)
	v_mul_f32_e32 v0, v10, v0
	s_mov_b64 s[0:1], exec
	v_readlane_b32 s2, v18, 34
	v_readlane_b32 s3, v18, 35
	s_and_b64 s[2:3], s[0:1], s[2:3]
	s_mov_b64 exec, s[2:3]
	s_cbranch_execz .LBB7_243
; %bb.242:
	ds_read_b32 v12, v4 offset:12672
	s_waitcnt lgkmcnt(0)
	v_fmac_f32_e32 v0, v11, v12
.LBB7_243:
	s_or_b64 exec, exec, s[0:1]
	ds_bpermute_b32 v12, v5, v0
	s_waitcnt lgkmcnt(0)
	v_add_f32_e32 v0, v0, v12
	ds_bpermute_b32 v12, v6, v0
	s_waitcnt lgkmcnt(0)
	v_add_f32_e32 v0, v0, v12
	ds_bpermute_b32 v12, v7, v0
	s_waitcnt lgkmcnt(0)
	v_add_f32_e32 v0, v0, v12
	ds_bpermute_b32 v12, v8, v0
	s_waitcnt lgkmcnt(0)
	v_add_f32_e32 v0, v0, v12
	ds_bpermute_b32 v12, v9, v0
	s_and_saveexec_b64 s[0:1], s[12:13]
	s_cbranch_execz .LBB7_245
; %bb.244:
	v_mov_b32_e32 v13, 0
	ds_read_b32 v13, v13 offset:12740
	s_waitcnt lgkmcnt(1)
	v_add_f32_e32 v0, v0, v12
	v_sub_f32_e32 v0, v11, v0
	s_waitcnt lgkmcnt(0)
	v_div_scale_f32 v11, s[2:3], v13, v13, v0
	v_div_scale_f32 v12, vcc, v0, v13, v0
	v_rcp_f32_e32 v14, v11
	v_fma_f32 v15, -v11, v14, 1.0
	v_fmac_f32_e32 v14, v15, v14
	v_mul_f32_e32 v15, v12, v14
	v_fma_f32 v16, -v11, v15, v12
	v_fmac_f32_e32 v15, v16, v14
	v_fma_f32 v11, -v11, v15, v12
	v_div_fmas_f32 v11, v11, v14, v15
	v_div_fixup_f32 v11, v11, v13, v0
.LBB7_245:
	s_or_b64 exec, exec, s[0:1]
	ds_read_b32 v0, v4 offset:12800
	s_waitcnt lgkmcnt(0)
	v_mul_f32_e32 v0, v10, v0
	s_mov_b64 s[0:1], exec
	v_readlane_b32 s2, v18, 36
	v_readlane_b32 s3, v18, 37
	s_and_b64 s[2:3], s[0:1], s[2:3]
	s_mov_b64 exec, s[2:3]
	s_cbranch_execz .LBB7_247
; %bb.246:
	ds_read_b32 v12, v4 offset:12928
	s_waitcnt lgkmcnt(0)
	v_fmac_f32_e32 v0, v11, v12
.LBB7_247:
	s_or_b64 exec, exec, s[0:1]
	ds_bpermute_b32 v12, v5, v0
	s_waitcnt lgkmcnt(0)
	v_add_f32_e32 v0, v0, v12
	ds_bpermute_b32 v12, v6, v0
	s_waitcnt lgkmcnt(0)
	v_add_f32_e32 v0, v0, v12
	ds_bpermute_b32 v12, v7, v0
	s_waitcnt lgkmcnt(0)
	v_add_f32_e32 v0, v0, v12
	ds_bpermute_b32 v12, v8, v0
	s_waitcnt lgkmcnt(0)
	v_add_f32_e32 v0, v0, v12
	ds_bpermute_b32 v12, v9, v0
	s_and_saveexec_b64 s[0:1], s[14:15]
	s_cbranch_execz .LBB7_249
; %bb.248:
	v_mov_b32_e32 v13, 0
	ds_read_b32 v13, v13 offset:13000
	s_waitcnt lgkmcnt(1)
	v_add_f32_e32 v0, v0, v12
	v_sub_f32_e32 v0, v11, v0
	s_waitcnt lgkmcnt(0)
	v_div_scale_f32 v11, s[2:3], v13, v13, v0
	v_div_scale_f32 v12, vcc, v0, v13, v0
	v_rcp_f32_e32 v14, v11
	v_fma_f32 v15, -v11, v14, 1.0
	v_fmac_f32_e32 v14, v15, v14
	v_mul_f32_e32 v15, v12, v14
	v_fma_f32 v16, -v11, v15, v12
	v_fmac_f32_e32 v15, v16, v14
	v_fma_f32 v11, -v11, v15, v12
	v_div_fmas_f32 v11, v11, v14, v15
	v_div_fixup_f32 v11, v11, v13, v0
.LBB7_249:
	s_or_b64 exec, exec, s[0:1]
	ds_read_b32 v0, v4 offset:13056
	s_waitcnt lgkmcnt(0)
	v_mul_f32_e32 v0, v10, v0
	s_mov_b64 s[0:1], exec
	v_readlane_b32 s2, v18, 38
	v_readlane_b32 s3, v18, 39
	s_and_b64 s[2:3], s[0:1], s[2:3]
	s_mov_b64 exec, s[2:3]
	s_cbranch_execz .LBB7_251
; %bb.250:
	ds_read_b32 v12, v4 offset:13184
	s_waitcnt lgkmcnt(0)
	v_fmac_f32_e32 v0, v11, v12
.LBB7_251:
	s_or_b64 exec, exec, s[0:1]
	ds_bpermute_b32 v12, v5, v0
	s_waitcnt lgkmcnt(0)
	v_add_f32_e32 v0, v0, v12
	ds_bpermute_b32 v12, v6, v0
	s_waitcnt lgkmcnt(0)
	v_add_f32_e32 v0, v0, v12
	ds_bpermute_b32 v12, v7, v0
	s_waitcnt lgkmcnt(0)
	v_add_f32_e32 v0, v0, v12
	ds_bpermute_b32 v12, v8, v0
	s_waitcnt lgkmcnt(0)
	v_add_f32_e32 v0, v0, v12
	ds_bpermute_b32 v12, v9, v0
	s_and_saveexec_b64 s[0:1], s[16:17]
	s_cbranch_execz .LBB7_253
; %bb.252:
	v_mov_b32_e32 v13, 0
	ds_read_b32 v13, v13 offset:13260
	s_waitcnt lgkmcnt(1)
	v_add_f32_e32 v0, v0, v12
	v_sub_f32_e32 v0, v11, v0
	s_waitcnt lgkmcnt(0)
	v_div_scale_f32 v11, s[2:3], v13, v13, v0
	v_div_scale_f32 v12, vcc, v0, v13, v0
	v_rcp_f32_e32 v14, v11
	v_fma_f32 v15, -v11, v14, 1.0
	v_fmac_f32_e32 v14, v15, v14
	v_mul_f32_e32 v15, v12, v14
	v_fma_f32 v16, -v11, v15, v12
	v_fmac_f32_e32 v15, v16, v14
	v_fma_f32 v11, -v11, v15, v12
	v_div_fmas_f32 v11, v11, v14, v15
	v_div_fixup_f32 v11, v11, v13, v0
.LBB7_253:
	s_or_b64 exec, exec, s[0:1]
	ds_read_b32 v0, v4 offset:13312
	s_waitcnt lgkmcnt(0)
	v_mul_f32_e32 v0, v10, v0
	s_and_saveexec_b64 s[0:1], s[50:51]
	s_cbranch_execz .LBB7_255
; %bb.254:
	ds_read_b32 v12, v4 offset:13440
	s_waitcnt lgkmcnt(0)
	v_fmac_f32_e32 v0, v11, v12
.LBB7_255:
	s_or_b64 exec, exec, s[0:1]
	ds_bpermute_b32 v12, v5, v0
	s_waitcnt lgkmcnt(0)
	v_add_f32_e32 v0, v0, v12
	ds_bpermute_b32 v12, v6, v0
	s_waitcnt lgkmcnt(0)
	v_add_f32_e32 v0, v0, v12
	ds_bpermute_b32 v12, v7, v0
	s_waitcnt lgkmcnt(0)
	v_add_f32_e32 v0, v0, v12
	ds_bpermute_b32 v12, v8, v0
	s_waitcnt lgkmcnt(0)
	v_add_f32_e32 v0, v0, v12
	ds_bpermute_b32 v12, v9, v0
	s_and_saveexec_b64 s[0:1], s[18:19]
	s_cbranch_execz .LBB7_257
; %bb.256:
	v_mov_b32_e32 v13, 0
	ds_read_b32 v13, v13 offset:13520
	s_waitcnt lgkmcnt(1)
	v_add_f32_e32 v0, v0, v12
	v_sub_f32_e32 v0, v11, v0
	s_waitcnt lgkmcnt(0)
	v_div_scale_f32 v11, s[2:3], v13, v13, v0
	v_div_scale_f32 v12, vcc, v0, v13, v0
	v_rcp_f32_e32 v14, v11
	v_fma_f32 v15, -v11, v14, 1.0
	v_fmac_f32_e32 v14, v15, v14
	v_mul_f32_e32 v15, v12, v14
	v_fma_f32 v16, -v11, v15, v12
	v_fmac_f32_e32 v15, v16, v14
	v_fma_f32 v11, -v11, v15, v12
	v_div_fmas_f32 v11, v11, v14, v15
	v_div_fixup_f32 v11, v11, v13, v0
.LBB7_257:
	s_or_b64 exec, exec, s[0:1]
	ds_read_b32 v0, v4 offset:13568
	s_waitcnt lgkmcnt(0)
	v_mul_f32_e32 v0, v10, v0
	s_and_saveexec_b64 s[0:1], s[52:53]
	;; [unrolled: 46-line block ×11, first 2 shown]
	s_cbranch_execz .LBB7_295
; %bb.294:
	ds_read_b32 v12, v4 offset:16000
	s_waitcnt lgkmcnt(0)
	v_fmac_f32_e32 v0, v11, v12
.LBB7_295:
	s_or_b64 exec, exec, s[0:1]
	ds_bpermute_b32 v12, v5, v0
	s_waitcnt lgkmcnt(0)
	v_add_f32_e32 v0, v0, v12
	ds_bpermute_b32 v12, v6, v0
	s_waitcnt lgkmcnt(0)
	v_add_f32_e32 v0, v0, v12
	;; [unrolled: 3-line block ×4, first 2 shown]
	ds_bpermute_b32 v12, v9, v0
	s_and_saveexec_b64 s[0:1], s[40:41]
	s_cbranch_execz .LBB7_297
; %bb.296:
	v_mov_b32_e32 v13, 0
	ds_read_b32 v13, v13 offset:16120
	s_waitcnt lgkmcnt(1)
	v_add_f32_e32 v0, v0, v12
	v_sub_f32_e32 v0, v11, v0
	s_waitcnt lgkmcnt(0)
	v_div_scale_f32 v11, s[2:3], v13, v13, v0
	v_div_scale_f32 v12, vcc, v0, v13, v0
	v_rcp_f32_e32 v14, v11
	v_fma_f32 v15, -v11, v14, 1.0
	v_fmac_f32_e32 v14, v15, v14
	v_mul_f32_e32 v15, v12, v14
	v_fma_f32 v16, -v11, v15, v12
	v_fmac_f32_e32 v15, v16, v14
	v_fma_f32 v11, -v11, v15, v12
	v_div_fmas_f32 v11, v11, v14, v15
	v_div_fixup_f32 v11, v11, v13, v0
.LBB7_297:
	s_or_b64 exec, exec, s[0:1]
	ds_read_b32 v0, v4 offset:16128
	s_load_dwordx2 s[0:1], s[4:5], 0x10
	s_waitcnt lgkmcnt(0)
	v_mul_f32_e32 v0, v10, v0
	s_mov_b64 s[2:3], exec
	v_readlane_b32 s4, v18, 40
	v_readlane_b32 s5, v18, 41
	s_and_b64 s[4:5], s[2:3], s[4:5]
	s_mov_b64 exec, s[4:5]
	s_cbranch_execz .LBB7_299
; %bb.298:
	ds_read_b32 v4, v4 offset:16256
	s_waitcnt lgkmcnt(0)
	v_fmac_f32_e32 v0, v11, v4
.LBB7_299:
	s_or_b64 exec, exec, s[2:3]
	ds_bpermute_b32 v4, v5, v0
	s_waitcnt lgkmcnt(0)
	v_add_f32_e32 v0, v0, v4
	ds_bpermute_b32 v4, v6, v0
	s_waitcnt lgkmcnt(0)
	v_add_f32_e32 v0, v0, v4
	;; [unrolled: 3-line block ×4, first 2 shown]
	ds_bpermute_b32 v4, v9, v0
	s_mov_b64 s[2:3], exec
	v_readlane_b32 s4, v18, 42
	v_readlane_b32 s5, v18, 43
	s_and_b64 s[4:5], s[2:3], s[4:5]
	s_mov_b64 exec, s[4:5]
	s_cbranch_execz .LBB7_301
; %bb.300:
	v_mov_b32_e32 v5, 0
	ds_read_b32 v5, v5 offset:16380
	s_waitcnt lgkmcnt(1)
	v_add_f32_e32 v0, v0, v4
	v_sub_f32_e32 v0, v11, v0
	s_waitcnt lgkmcnt(0)
	v_div_scale_f32 v4, s[4:5], v5, v5, v0
	v_div_scale_f32 v6, vcc, v0, v5, v0
	v_rcp_f32_e32 v7, v4
	v_fma_f32 v8, -v4, v7, 1.0
	v_fmac_f32_e32 v7, v8, v7
	v_mul_f32_e32 v8, v6, v7
	v_fma_f32 v9, -v4, v8, v6
	v_fmac_f32_e32 v8, v9, v7
	v_fma_f32 v4, -v4, v8, v6
	v_div_fmas_f32 v4, v4, v7, v8
	v_div_fixup_f32 v11, v4, v5, v0
.LBB7_301:
	s_or_b64 exec, exec, s[2:3]
	s_mul_i32 s2, s45, s48
	s_mul_hi_u32 s3, s44, s48
	s_add_i32 s3, s3, s2
	s_mul_i32 s2, s44, s48
	s_mul_i32 s4, s47, s33
	s_mul_hi_u32 s5, s46, s33
	s_add_i32 s5, s5, s4
	s_lshl_b64 s[2:3], s[2:3], 2
	s_mul_i32 s4, s46, s33
	s_add_u32 s2, s0, s2
	s_addc_u32 s3, s1, s3
	s_lshl_b64 s[0:1], s[4:5], 2
	s_add_u32 s0, s2, s0
	s_addc_u32 s1, s3, s1
	s_mov_b64 s[2:3], exec
	v_readlane_b32 s4, v18, 0
	v_readlane_b32 s5, v18, 1
	s_and_b64 s[4:5], s[2:3], s[4:5]
	s_mov_b64 exec, s[4:5]
	s_cbranch_execz .LBB7_303
; %bb.302:
	v_readlane_b32 s4, v18, 2
	v_readlane_b32 s5, v18, 3
	v_cndmask_b32_e64 v0, v11, v10, s[4:5]
	v_add_lshl_u32 v2, v2, v1, 2
	global_store_dword v2, v0, s[0:1]
.LBB7_303:
	s_or_b64 exec, exec, s[2:3]
	v_readlane_b32 s2, v18, 2
	v_readlane_b32 s3, v18, 3
	s_and_b64 exec, exec, s[2:3]
	s_cbranch_execz .LBB7_305
; %bb.304:
	v_add_lshl_u32 v0, v3, v1, 2
	global_store_dword v0, v11, s[0:1]
.LBB7_305:
	s_endpgm
	.section	.rodata,"a",@progbits
	.p2align	6, 0x0
	.amdhsa_kernel _ZL18solve_tri_f32_fastILi64ELi6EEvPKfS1_Pf15HIP_vector_typeIjLj3EEmmmmmmii
		.amdhsa_group_segment_fixed_size 16384
		.amdhsa_private_segment_fixed_size 0
		.amdhsa_kernarg_size 352
		.amdhsa_user_sgpr_count 6
		.amdhsa_user_sgpr_private_segment_buffer 1
		.amdhsa_user_sgpr_dispatch_ptr 0
		.amdhsa_user_sgpr_queue_ptr 0
		.amdhsa_user_sgpr_kernarg_segment_ptr 1
		.amdhsa_user_sgpr_dispatch_id 0
		.amdhsa_user_sgpr_flat_scratch_init 0
		.amdhsa_user_sgpr_private_segment_size 0
		.amdhsa_uses_dynamic_stack 0
		.amdhsa_system_sgpr_private_segment_wavefront_offset 0
		.amdhsa_system_sgpr_workgroup_id_x 1
		.amdhsa_system_sgpr_workgroup_id_y 0
		.amdhsa_system_sgpr_workgroup_id_z 0
		.amdhsa_system_sgpr_workgroup_info 0
		.amdhsa_system_vgpr_workitem_id 1
		.amdhsa_next_free_vgpr 29
		.amdhsa_next_free_sgpr 96
		.amdhsa_reserve_vcc 1
		.amdhsa_reserve_flat_scratch 0
		.amdhsa_float_round_mode_32 0
		.amdhsa_float_round_mode_16_64 0
		.amdhsa_float_denorm_mode_32 3
		.amdhsa_float_denorm_mode_16_64 3
		.amdhsa_dx10_clamp 1
		.amdhsa_ieee_mode 1
		.amdhsa_fp16_overflow 0
		.amdhsa_exception_fp_ieee_invalid_op 0
		.amdhsa_exception_fp_denorm_src 0
		.amdhsa_exception_fp_ieee_div_zero 0
		.amdhsa_exception_fp_ieee_overflow 0
		.amdhsa_exception_fp_ieee_underflow 0
		.amdhsa_exception_fp_ieee_inexact 0
		.amdhsa_exception_int_div_zero 0
	.end_amdhsa_kernel
	.section	.text._ZL18solve_tri_f32_fastILi64ELi6EEvPKfS1_Pf15HIP_vector_typeIjLj3EEmmmmmmii,"axG",@progbits,_ZL18solve_tri_f32_fastILi64ELi6EEvPKfS1_Pf15HIP_vector_typeIjLj3EEmmmmmmii,comdat
.Lfunc_end7:
	.size	_ZL18solve_tri_f32_fastILi64ELi6EEvPKfS1_Pf15HIP_vector_typeIjLj3EEmmmmmmii, .Lfunc_end7-_ZL18solve_tri_f32_fastILi64ELi6EEvPKfS1_Pf15HIP_vector_typeIjLj3EEmmmmmmii
                                        ; -- End function
	.set _ZL18solve_tri_f32_fastILi64ELi6EEvPKfS1_Pf15HIP_vector_typeIjLj3EEmmmmmmii.num_vgpr, 19
	.set _ZL18solve_tri_f32_fastILi64ELi6EEvPKfS1_Pf15HIP_vector_typeIjLj3EEmmmmmmii.num_agpr, 0
	.set _ZL18solve_tri_f32_fastILi64ELi6EEvPKfS1_Pf15HIP_vector_typeIjLj3EEmmmmmmii.numbered_sgpr, 96
	.set _ZL18solve_tri_f32_fastILi64ELi6EEvPKfS1_Pf15HIP_vector_typeIjLj3EEmmmmmmii.num_named_barrier, 0
	.set _ZL18solve_tri_f32_fastILi64ELi6EEvPKfS1_Pf15HIP_vector_typeIjLj3EEmmmmmmii.private_seg_size, 0
	.set _ZL18solve_tri_f32_fastILi64ELi6EEvPKfS1_Pf15HIP_vector_typeIjLj3EEmmmmmmii.uses_vcc, 1
	.set _ZL18solve_tri_f32_fastILi64ELi6EEvPKfS1_Pf15HIP_vector_typeIjLj3EEmmmmmmii.uses_flat_scratch, 0
	.set _ZL18solve_tri_f32_fastILi64ELi6EEvPKfS1_Pf15HIP_vector_typeIjLj3EEmmmmmmii.has_dyn_sized_stack, 0
	.set _ZL18solve_tri_f32_fastILi64ELi6EEvPKfS1_Pf15HIP_vector_typeIjLj3EEmmmmmmii.has_recursion, 0
	.set _ZL18solve_tri_f32_fastILi64ELi6EEvPKfS1_Pf15HIP_vector_typeIjLj3EEmmmmmmii.has_indirect_call, 0
	.section	.AMDGPU.csdata,"",@progbits
; Kernel info:
; codeLenInByte = 17548
; TotalNumSgprs: 100
; NumVgprs: 19
; ScratchSize: 0
; MemoryBound: 0
; FloatMode: 240
; IeeeMode: 1
; LDSByteSize: 16384 bytes/workgroup (compile time only)
; SGPRBlocks: 12
; VGPRBlocks: 7
; NumSGPRsForWavesPerEU: 100
; NumVGPRsForWavesPerEU: 29
; Occupancy: 8
; WaveLimiterHint : 0
; COMPUTE_PGM_RSRC2:SCRATCH_EN: 0
; COMPUTE_PGM_RSRC2:USER_SGPR: 6
; COMPUTE_PGM_RSRC2:TRAP_HANDLER: 0
; COMPUTE_PGM_RSRC2:TGID_X_EN: 1
; COMPUTE_PGM_RSRC2:TGID_Y_EN: 0
; COMPUTE_PGM_RSRC2:TGID_Z_EN: 0
; COMPUTE_PGM_RSRC2:TIDIG_COMP_CNT: 1
	.section	.text._ZL18solve_tri_f32_fastILi64ELi4EEvPKfS1_Pf15HIP_vector_typeIjLj3EEmmmmmmii,"axG",@progbits,_ZL18solve_tri_f32_fastILi64ELi4EEvPKfS1_Pf15HIP_vector_typeIjLj3EEmmmmmmii,comdat
	.globl	_ZL18solve_tri_f32_fastILi64ELi4EEvPKfS1_Pf15HIP_vector_typeIjLj3EEmmmmmmii ; -- Begin function _ZL18solve_tri_f32_fastILi64ELi4EEvPKfS1_Pf15HIP_vector_typeIjLj3EEmmmmmmii
	.p2align	8
	.type	_ZL18solve_tri_f32_fastILi64ELi4EEvPKfS1_Pf15HIP_vector_typeIjLj3EEmmmmmmii,@function
_ZL18solve_tri_f32_fastILi64ELi4EEvPKfS1_Pf15HIP_vector_typeIjLj3EEmmmmmmii: ; @_ZL18solve_tri_f32_fastILi64ELi4EEvPKfS1_Pf15HIP_vector_typeIjLj3EEmmmmmmii
; %bb.0:
	v_cmp_gt_u32_e32 vcc, 4, v1
	s_and_saveexec_b64 s[0:1], vcc
	s_cbranch_execz .LBB8_325
; %bb.1:
	s_load_dwordx4 s[0:3], s[4:5], 0x18
	s_load_dwordx2 s[16:17], s[4:5], 0x0
	s_load_dwordx8 s[8:15], s[4:5], 0x28
	s_waitcnt lgkmcnt(0)
	s_mul_hi_u32 s0, s0, s6
	s_add_i32 s0, s6, s0
	s_lshr_b32 s33, s0, s1
	s_mul_i32 s0, s33, s2
	s_sub_i32 s48, s6, s0
	s_mul_i32 s1, s9, s48
	s_mul_hi_u32 s2, s8, s48
	s_mul_i32 s0, s8, s48
	s_add_i32 s1, s2, s1
	s_lshl_b64 s[0:1], s[0:1], 2
	s_add_u32 s2, s16, s0
	s_load_dword s6, s[4:5], 0x6c
	s_addc_u32 s3, s17, s1
	s_mul_i32 s0, s11, s33
	s_mul_hi_u32 s1, s10, s33
	s_add_i32 s1, s1, s0
	s_mul_i32 s0, s10, s33
	s_lshl_b64 s[0:1], s[0:1], 2
	s_add_u32 s0, s2, s0
	s_addc_u32 s1, s3, s1
	s_waitcnt lgkmcnt(0)
	s_and_b32 s2, s6, 0xffff
	v_mad_u32_u24 v3, v1, s2, v0
	s_movk_i32 s2, 0x1000
	v_cmp_gt_u32_e32 vcc, s2, v3
	v_lshlrev_b32_e32 v2, 2, v3
	s_and_saveexec_b64 s[2:3], vcc
	s_cbranch_execz .LBB8_3
; %bb.2:
	global_load_dword v4, v2, s[0:1]
	s_waitcnt vmcnt(0)
	ds_write_b32 v2, v4
.LBB8_3:
	s_or_b64 exec, exec, s[2:3]
	s_movk_i32 s2, 0xf80
	v_cmp_gt_u32_e32 vcc, s2, v3
	s_and_saveexec_b64 s[2:3], vcc
	s_cbranch_execz .LBB8_5
; %bb.4:
	global_load_dword v4, v2, s[0:1] offset:512
	s_waitcnt vmcnt(0)
	ds_write_b32 v2, v4 offset:512
.LBB8_5:
	s_or_b64 exec, exec, s[2:3]
	s_movk_i32 s2, 0xf00
	v_cmp_gt_u32_e32 vcc, s2, v3
	s_and_saveexec_b64 s[2:3], vcc
	s_cbranch_execz .LBB8_7
; %bb.6:
	global_load_dword v4, v2, s[0:1] offset:1024
	s_waitcnt vmcnt(0)
	ds_write_b32 v2, v4 offset:1024
.LBB8_7:
	;; [unrolled: 10-line block ×7, first 2 shown]
	s_or_b64 exec, exec, s[2:3]
	s_movk_i32 s2, 0xc00
	v_cmp_gt_u32_e32 vcc, s2, v3
	s_and_saveexec_b64 s[2:3], vcc
	s_cbranch_execz .LBB8_19
; %bb.18:
	v_add_u32_e32 v4, 0x1000, v2
	global_load_dword v4, v4, s[0:1]
	s_waitcnt vmcnt(0)
	ds_write_b32 v2, v4 offset:4096
.LBB8_19:
	s_or_b64 exec, exec, s[2:3]
	s_movk_i32 s2, 0xb80
	v_cmp_gt_u32_e32 vcc, s2, v3
	s_and_saveexec_b64 s[2:3], vcc
	s_cbranch_execz .LBB8_21
; %bb.20:
	v_add_u32_e32 v4, 0x1200, v2
	global_load_dword v4, v4, s[0:1]
	s_waitcnt vmcnt(0)
	ds_write_b32 v2, v4 offset:4608
.LBB8_21:
	;; [unrolled: 11-line block ×8, first 2 shown]
	s_or_b64 exec, exec, s[2:3]
	s_movk_i32 s2, 0x800
	v_cmp_gt_u32_e32 vcc, s2, v3
	s_and_saveexec_b64 s[2:3], vcc
	s_cbranch_execz .LBB8_35
; %bb.34:
	v_or_b32_e32 v4, 0x2000, v2
	global_load_dword v4, v4, s[0:1]
	s_waitcnt vmcnt(0)
	ds_write_b32 v2, v4 offset:8192
.LBB8_35:
	s_or_b64 exec, exec, s[2:3]
	s_movk_i32 s2, 0x780
	v_cmp_gt_u32_e32 vcc, s2, v3
	s_and_saveexec_b64 s[2:3], vcc
	s_cbranch_execz .LBB8_37
; %bb.36:
	v_add_u32_e32 v4, 0x2200, v2
	global_load_dword v4, v4, s[0:1]
	s_waitcnt vmcnt(0)
	ds_write_b32 v2, v4 offset:8704
.LBB8_37:
	s_or_b64 exec, exec, s[2:3]
	s_movk_i32 s2, 0x700
	v_cmp_gt_u32_e32 vcc, s2, v3
	s_and_saveexec_b64 s[2:3], vcc
	s_cbranch_execz .LBB8_39
; %bb.38:
	v_add_u32_e32 v4, 0x2400, v2
	global_load_dword v4, v4, s[0:1]
	s_waitcnt vmcnt(0)
	ds_write_b32 v2, v4 offset:9216
.LBB8_39:
	;; [unrolled: 11-line block ×7, first 2 shown]
	s_or_b64 exec, exec, s[2:3]
	s_movk_i32 s2, 0x400
	v_cmp_gt_u32_e32 vcc, s2, v3
	s_and_saveexec_b64 s[2:3], vcc
	s_cbranch_execz .LBB8_51
; %bb.50:
	v_or_b32_e32 v4, 0x3000, v2
	global_load_dword v4, v4, s[0:1]
	s_waitcnt vmcnt(0)
	ds_write_b32 v2, v4 offset:12288
.LBB8_51:
	s_or_b64 exec, exec, s[2:3]
	s_movk_i32 s2, 0x380
	v_cmp_gt_u32_e32 vcc, s2, v3
	s_and_saveexec_b64 s[2:3], vcc
	s_cbranch_execz .LBB8_53
; %bb.52:
	v_add_u32_e32 v4, 0x3200, v2
	global_load_dword v4, v4, s[0:1]
	s_waitcnt vmcnt(0)
	ds_write_b32 v2, v4 offset:12800
.LBB8_53:
	s_or_b64 exec, exec, s[2:3]
	s_movk_i32 s2, 0x300
	v_cmp_gt_u32_e32 vcc, s2, v3
	s_and_saveexec_b64 s[2:3], vcc
	s_cbranch_execz .LBB8_55
; %bb.54:
	v_add_u32_e32 v4, 0x3400, v2
	global_load_dword v4, v4, s[0:1]
	s_waitcnt vmcnt(0)
	ds_write_b32 v2, v4 offset:13312
.LBB8_55:
	;; [unrolled: 11-line block ×3, first 2 shown]
	s_or_b64 exec, exec, s[2:3]
	s_movk_i32 s2, 0x200
	v_cmp_gt_u32_e32 vcc, s2, v3
	s_and_saveexec_b64 s[2:3], vcc
	s_cbranch_execz .LBB8_59
; %bb.58:
	v_or_b32_e32 v4, 0x3800, v2
	global_load_dword v4, v4, s[0:1]
	s_waitcnt vmcnt(0)
	ds_write_b32 v2, v4 offset:14336
.LBB8_59:
	s_or_b64 exec, exec, s[2:3]
	s_load_dwordx4 s[44:47], s[4:5], 0x48
	s_movk_i32 s2, 0x180
	v_cmp_gt_u32_e32 vcc, s2, v3
	s_and_saveexec_b64 s[2:3], vcc
	s_cbranch_execz .LBB8_61
; %bb.60:
	v_add_u32_e32 v4, 0x3a00, v2
	global_load_dword v4, v4, s[0:1]
	s_waitcnt vmcnt(0)
	ds_write_b32 v2, v4 offset:14848
.LBB8_61:
	s_or_b64 exec, exec, s[2:3]
	s_load_dwordx2 s[2:3], s[4:5], 0x8
	s_movk_i32 s6, 0x100
	v_cmp_gt_u32_e32 vcc, s6, v3
	s_and_saveexec_b64 s[6:7], vcc
	s_cbranch_execz .LBB8_63
; %bb.62:
	v_or_b32_e32 v4, 0x3c00, v2
	global_load_dword v4, v4, s[0:1]
	s_waitcnt vmcnt(0)
	ds_write_b32 v2, v4 offset:15360
.LBB8_63:
	s_or_b64 exec, exec, s[6:7]
	s_movk_i32 s6, 0x80
	v_cmp_gt_u32_e32 vcc, s6, v3
	s_and_saveexec_b64 s[6:7], vcc
	s_cbranch_execz .LBB8_65
; %bb.64:
	v_or_b32_e32 v3, 0x3e00, v2
	global_load_dword v3, v3, s[0:1]
	s_waitcnt vmcnt(0)
	ds_write_b32 v2, v3 offset:15872
.LBB8_65:
	s_or_b64 exec, exec, s[6:7]
	s_mul_i32 s0, s13, s48
	s_mul_hi_u32 s1, s12, s48
	s_add_i32 s1, s1, s0
	s_mul_i32 s0, s12, s48
	s_mul_i32 s6, s15, s33
	s_mul_hi_u32 s7, s14, s33
	s_add_i32 s7, s7, s6
	s_lshl_b64 s[0:1], s[0:1], 2
	s_mul_i32 s6, s14, s33
	s_waitcnt lgkmcnt(0)
	s_add_u32 s2, s2, s0
	s_addc_u32 s3, s3, s1
	s_lshl_b64 s[0:1], s[6:7], 2
	s_add_u32 s0, s2, s0
	s_addc_u32 s1, s3, s1
	v_mov_b32_e32 v10, 0
	v_lshlrev_b32_e32 v1, 2, v1
	v_mov_b32_e32 v9, 0
	s_barrier
	v_cmp_gt_u32_e64 s[6:7], 64, v0
	s_mov_b64 s[2:3], exec
                                        ; implicit-def: $vgpr17 : SGPR spill to VGPR lane
	v_writelane_b32 v17, s6, 0
	v_writelane_b32 v17, s7, 1
	s_and_b64 s[6:7], s[2:3], s[6:7]
	s_mov_b64 exec, s[6:7]
	s_cbranch_execz .LBB8_67
; %bb.66:
	v_lshl_or_b32 v2, v0, 4, v1
	global_load_dword v9, v2, s[0:1]
.LBB8_67:
	s_or_b64 exec, exec, s[2:3]
	v_add_u32_e32 v2, 32, v0
	v_cmp_gt_u32_e64 s[6:7], 32, v0
	s_mov_b64 s[2:3], exec
	v_writelane_b32 v17, s6, 2
	v_writelane_b32 v17, s7, 3
	s_and_b64 s[6:7], s[2:3], s[6:7]
	s_mov_b64 exec, s[6:7]
	s_cbranch_execz .LBB8_69
; %bb.68:
	v_lshl_or_b32 v3, v2, 4, v1
	global_load_dword v10, v3, s[0:1]
.LBB8_69:
	s_or_b64 exec, exec, s[2:3]
	v_cmp_eq_u32_e64 s[6:7], 0, v0
	s_and_saveexec_b64 s[0:1], s[6:7]
	s_cbranch_execz .LBB8_71
; %bb.70:
	v_mov_b32_e32 v3, 0
	ds_read_b32 v3, v3
	s_waitcnt vmcnt(0) lgkmcnt(0)
	v_div_scale_f32 v4, s[2:3], v3, v3, v9
	v_div_scale_f32 v5, vcc, v9, v3, v9
	v_rcp_f32_e32 v6, v4
	v_fma_f32 v7, -v4, v6, 1.0
	v_fmac_f32_e32 v6, v7, v6
	v_mul_f32_e32 v7, v5, v6
	v_fma_f32 v8, -v4, v7, v5
	v_fmac_f32_e32 v7, v8, v6
	v_fma_f32 v4, -v4, v7, v5
	v_div_fmas_f32 v4, v4, v6, v7
	v_div_fixup_f32 v9, v4, v3, v9
.LBB8_71:
	s_or_b64 exec, exec, s[0:1]
	v_lshlrev_b32_e32 v3, 2, v0
	v_mov_b32_e32 v6, 0
	s_and_saveexec_b64 s[0:1], s[6:7]
	s_cbranch_execz .LBB8_73
; %bb.72:
	ds_read_b32 v4, v3 offset:256
	s_waitcnt vmcnt(0) lgkmcnt(0)
	v_fma_f32 v6, v9, v4, 0
.LBB8_73:
	s_or_b64 exec, exec, s[0:1]
	v_mbcnt_lo_u32_b32 v4, -1, 0
	v_mbcnt_hi_u32_b32 v8, -1, v4
	v_and_b32_e32 v4, 0x60, v8
	v_add_u32_e32 v11, 32, v4
	v_xor_b32_e32 v4, 16, v8
	v_cmp_lt_i32_e32 vcc, v4, v11
	v_cndmask_b32_e32 v4, v8, v4, vcc
	v_lshlrev_b32_e32 v4, 2, v4
	ds_bpermute_b32 v7, v4, v6
	v_xor_b32_e32 v5, 8, v8
	v_cmp_lt_i32_e32 vcc, v5, v11
	v_cndmask_b32_e32 v5, v8, v5, vcc
	v_lshlrev_b32_e32 v5, 2, v5
	s_waitcnt lgkmcnt(0)
	v_add_f32_e32 v7, v6, v7
	ds_bpermute_b32 v12, v5, v7
	v_xor_b32_e32 v6, 4, v8
	v_cmp_lt_i32_e32 vcc, v6, v11
	v_cndmask_b32_e32 v6, v8, v6, vcc
	v_lshlrev_b32_e32 v6, 2, v6
	s_waitcnt lgkmcnt(0)
	v_add_f32_e32 v12, v7, v12
	;; [unrolled: 7-line block ×4, first 2 shown]
	ds_bpermute_b32 v12, v8, v11
	v_cmp_eq_u32_e64 s[72:73], 1, v0
	s_and_saveexec_b64 s[0:1], s[72:73]
	s_cbranch_execz .LBB8_75
; %bb.74:
	v_mov_b32_e32 v13, 0
	ds_read_b32 v13, v13 offset:260
	s_waitcnt lgkmcnt(1)
	v_add_f32_e32 v11, v11, v12
	s_waitcnt vmcnt(0)
	v_sub_f32_e32 v9, v9, v11
	s_waitcnt lgkmcnt(0)
	v_div_scale_f32 v11, s[2:3], v13, v13, v9
	v_div_scale_f32 v12, vcc, v9, v13, v9
	v_rcp_f32_e32 v14, v11
	v_fma_f32 v15, -v11, v14, 1.0
	v_fmac_f32_e32 v14, v15, v14
	v_mul_f32_e32 v15, v12, v14
	v_fma_f32 v16, -v11, v15, v12
	v_fmac_f32_e32 v15, v16, v14
	v_fma_f32 v11, -v11, v15, v12
	v_div_fmas_f32 v11, v11, v14, v15
	v_div_fixup_f32 v9, v11, v13, v9
.LBB8_75:
	s_or_b64 exec, exec, s[0:1]
	v_mov_b32_e32 v11, 0
	v_cmp_gt_u32_e64 s[2:3], 2, v0
	s_mov_b64 s[0:1], exec
	v_writelane_b32 v17, s2, 4
	v_writelane_b32 v17, s3, 5
	s_and_b64 s[2:3], s[0:1], s[2:3]
	s_mov_b64 exec, s[2:3]
	s_cbranch_execz .LBB8_77
; %bb.76:
	ds_read_b32 v11, v3 offset:512
	s_waitcnt vmcnt(0) lgkmcnt(0)
	v_fma_f32 v11, v9, v11, 0
.LBB8_77:
	s_or_b64 exec, exec, s[0:1]
	s_waitcnt lgkmcnt(0)
	ds_bpermute_b32 v12, v4, v11
	v_cmp_eq_u32_e64 s[74:75], 2, v0
	s_waitcnt lgkmcnt(0)
	v_add_f32_e32 v11, v11, v12
	ds_bpermute_b32 v12, v5, v11
	s_waitcnt lgkmcnt(0)
	v_add_f32_e32 v11, v11, v12
	ds_bpermute_b32 v12, v6, v11
	s_waitcnt lgkmcnt(0)
	v_add_f32_e32 v11, v11, v12
	ds_bpermute_b32 v12, v7, v11
	s_waitcnt lgkmcnt(0)
	v_add_f32_e32 v11, v11, v12
	ds_bpermute_b32 v12, v8, v11
	s_and_saveexec_b64 s[0:1], s[74:75]
	s_cbranch_execz .LBB8_79
; %bb.78:
	v_mov_b32_e32 v13, 0
	ds_read_b32 v13, v13 offset:520
	s_waitcnt lgkmcnt(1)
	v_add_f32_e32 v11, v11, v12
	s_waitcnt vmcnt(0)
	v_sub_f32_e32 v9, v9, v11
	s_waitcnt lgkmcnt(0)
	v_div_scale_f32 v11, s[2:3], v13, v13, v9
	v_div_scale_f32 v12, vcc, v9, v13, v9
	v_rcp_f32_e32 v14, v11
	v_fma_f32 v15, -v11, v14, 1.0
	v_fmac_f32_e32 v14, v15, v14
	v_mul_f32_e32 v15, v12, v14
	v_fma_f32 v16, -v11, v15, v12
	v_fmac_f32_e32 v15, v16, v14
	v_fma_f32 v11, -v11, v15, v12
	v_div_fmas_f32 v11, v11, v14, v15
	v_div_fixup_f32 v9, v11, v13, v9
.LBB8_79:
	s_or_b64 exec, exec, s[0:1]
	v_mov_b32_e32 v11, 0
	v_cmp_gt_u32_e64 s[2:3], 3, v0
	s_mov_b64 s[0:1], exec
	v_writelane_b32 v17, s2, 6
	v_writelane_b32 v17, s3, 7
	s_and_b64 s[2:3], s[0:1], s[2:3]
	s_mov_b64 exec, s[2:3]
	s_cbranch_execz .LBB8_81
; %bb.80:
	ds_read_b32 v11, v3 offset:768
	s_waitcnt vmcnt(0) lgkmcnt(0)
	v_fma_f32 v11, v9, v11, 0
.LBB8_81:
	s_or_b64 exec, exec, s[0:1]
	s_waitcnt lgkmcnt(0)
	ds_bpermute_b32 v12, v4, v11
	v_cmp_eq_u32_e64 s[76:77], 3, v0
	s_waitcnt lgkmcnt(0)
	v_add_f32_e32 v11, v11, v12
	ds_bpermute_b32 v12, v5, v11
	s_waitcnt lgkmcnt(0)
	v_add_f32_e32 v11, v11, v12
	ds_bpermute_b32 v12, v6, v11
	s_waitcnt lgkmcnt(0)
	v_add_f32_e32 v11, v11, v12
	ds_bpermute_b32 v12, v7, v11
	s_waitcnt lgkmcnt(0)
	v_add_f32_e32 v11, v11, v12
	ds_bpermute_b32 v12, v8, v11
	;; [unrolled: 52-line block ×18, first 2 shown]
	s_and_saveexec_b64 s[18:19], s[16:17]
	s_cbranch_execz .LBB8_147
; %bb.146:
	v_mov_b32_e32 v13, 0
	ds_read_b32 v13, v13 offset:4940
	s_waitcnt lgkmcnt(1)
	v_add_f32_e32 v11, v11, v12
	s_waitcnt vmcnt(0)
	v_sub_f32_e32 v9, v9, v11
	s_waitcnt lgkmcnt(0)
	v_div_scale_f32 v11, s[20:21], v13, v13, v9
	v_div_scale_f32 v12, vcc, v9, v13, v9
	v_rcp_f32_e32 v14, v11
	v_fma_f32 v15, -v11, v14, 1.0
	v_fmac_f32_e32 v14, v15, v14
	v_mul_f32_e32 v15, v12, v14
	v_fma_f32 v16, -v11, v15, v12
	v_fmac_f32_e32 v15, v16, v14
	v_fma_f32 v11, -v11, v15, v12
	v_div_fmas_f32 v11, v11, v14, v15
	v_div_fixup_f32 v9, v11, v13, v9
.LBB8_147:
	s_or_b64 exec, exec, s[18:19]
	v_cmp_gt_u32_e64 s[50:51], 20, v0
	v_mov_b32_e32 v11, 0
	s_and_saveexec_b64 s[18:19], s[50:51]
	s_cbranch_execz .LBB8_149
; %bb.148:
	ds_read_b32 v11, v3 offset:5120
	s_waitcnt vmcnt(0) lgkmcnt(0)
	v_fma_f32 v11, v9, v11, 0
.LBB8_149:
	s_or_b64 exec, exec, s[18:19]
	s_waitcnt lgkmcnt(0)
	ds_bpermute_b32 v12, v4, v11
	v_cmp_eq_u32_e64 s[18:19], 20, v0
	s_waitcnt lgkmcnt(0)
	v_add_f32_e32 v11, v11, v12
	ds_bpermute_b32 v12, v5, v11
	s_waitcnt lgkmcnt(0)
	v_add_f32_e32 v11, v11, v12
	ds_bpermute_b32 v12, v6, v11
	s_waitcnt lgkmcnt(0)
	v_add_f32_e32 v11, v11, v12
	ds_bpermute_b32 v12, v7, v11
	s_waitcnt lgkmcnt(0)
	v_add_f32_e32 v11, v11, v12
	ds_bpermute_b32 v12, v8, v11
	s_and_saveexec_b64 s[20:21], s[18:19]
	s_cbranch_execz .LBB8_151
; %bb.150:
	v_mov_b32_e32 v13, 0
	ds_read_b32 v13, v13 offset:5200
	s_waitcnt lgkmcnt(1)
	v_add_f32_e32 v11, v11, v12
	s_waitcnt vmcnt(0)
	v_sub_f32_e32 v9, v9, v11
	s_waitcnt lgkmcnt(0)
	v_div_scale_f32 v11, s[22:23], v13, v13, v9
	v_div_scale_f32 v12, vcc, v9, v13, v9
	v_rcp_f32_e32 v14, v11
	v_fma_f32 v15, -v11, v14, 1.0
	v_fmac_f32_e32 v14, v15, v14
	v_mul_f32_e32 v15, v12, v14
	v_fma_f32 v16, -v11, v15, v12
	v_fmac_f32_e32 v15, v16, v14
	v_fma_f32 v11, -v11, v15, v12
	v_div_fmas_f32 v11, v11, v14, v15
	v_div_fixup_f32 v9, v11, v13, v9
.LBB8_151:
	s_or_b64 exec, exec, s[20:21]
	v_cmp_gt_u32_e64 s[52:53], 21, v0
	v_mov_b32_e32 v11, 0
	s_and_saveexec_b64 s[20:21], s[52:53]
	s_cbranch_execz .LBB8_153
; %bb.152:
	ds_read_b32 v11, v3 offset:5376
	s_waitcnt vmcnt(0) lgkmcnt(0)
	v_fma_f32 v11, v9, v11, 0
.LBB8_153:
	s_or_b64 exec, exec, s[20:21]
	s_waitcnt lgkmcnt(0)
	ds_bpermute_b32 v12, v4, v11
	v_cmp_eq_u32_e64 s[20:21], 21, v0
	s_waitcnt lgkmcnt(0)
	v_add_f32_e32 v11, v11, v12
	ds_bpermute_b32 v12, v5, v11
	s_waitcnt lgkmcnt(0)
	v_add_f32_e32 v11, v11, v12
	ds_bpermute_b32 v12, v6, v11
	s_waitcnt lgkmcnt(0)
	v_add_f32_e32 v11, v11, v12
	ds_bpermute_b32 v12, v7, v11
	s_waitcnt lgkmcnt(0)
	v_add_f32_e32 v11, v11, v12
	ds_bpermute_b32 v12, v8, v11
	;; [unrolled: 48-line block ×11, first 2 shown]
	s_and_saveexec_b64 s[42:43], s[40:41]
	s_cbranch_execz .LBB8_191
; %bb.190:
	v_mov_b32_e32 v13, 0
	ds_read_b32 v13, v13 offset:7800
	s_waitcnt lgkmcnt(1)
	v_add_f32_e32 v11, v11, v12
	s_waitcnt vmcnt(0)
	v_sub_f32_e32 v9, v9, v11
	s_waitcnt lgkmcnt(0)
	v_div_scale_f32 v11, vcc, v13, v13, v9
	v_div_scale_f32 v12, vcc, v9, v13, v9
	v_rcp_f32_e32 v14, v11
	v_fma_f32 v15, -v11, v14, 1.0
	v_fmac_f32_e32 v14, v15, v14
	v_mul_f32_e32 v15, v12, v14
	v_fma_f32 v16, -v11, v15, v12
	v_fmac_f32_e32 v15, v16, v14
	v_fma_f32 v11, -v11, v15, v12
	v_div_fmas_f32 v11, v11, v14, v15
	v_div_fixup_f32 v9, v11, v13, v9
.LBB8_191:
	s_or_b64 exec, exec, s[42:43]
	v_mov_b32_e32 v11, 0
	v_cmp_gt_u32_e32 vcc, 31, v0
	s_mov_b64 s[42:43], exec
	v_writelane_b32 v17, vcc_lo, 40
	v_writelane_b32 v17, vcc_hi, 41
	s_and_b64 vcc, s[42:43], vcc
	s_mov_b64 exec, vcc
	s_cbranch_execz .LBB8_193
; %bb.192:
	ds_read_b32 v11, v3 offset:7936
	s_waitcnt vmcnt(0) lgkmcnt(0)
	v_fma_f32 v11, v9, v11, 0
.LBB8_193:
	s_or_b64 exec, exec, s[42:43]
	s_waitcnt lgkmcnt(0)
	ds_bpermute_b32 v12, v4, v11
	v_cmp_eq_u32_e32 vcc, 31, v0
	s_waitcnt lgkmcnt(0)
	v_add_f32_e32 v11, v11, v12
	ds_bpermute_b32 v12, v5, v11
	s_waitcnt lgkmcnt(0)
	v_add_f32_e32 v11, v11, v12
	ds_bpermute_b32 v12, v6, v11
	;; [unrolled: 3-line block ×4, first 2 shown]
	s_mov_b64 s[42:43], exec
	v_writelane_b32 v17, vcc_lo, 42
	v_writelane_b32 v17, vcc_hi, 43
	s_and_b64 vcc, s[42:43], vcc
	s_mov_b64 exec, vcc
	s_cbranch_execz .LBB8_195
; %bb.194:
	v_mov_b32_e32 v13, 0
	ds_read_b32 v13, v13 offset:8060
	s_waitcnt lgkmcnt(1)
	v_add_f32_e32 v11, v11, v12
	s_waitcnt vmcnt(0)
	v_sub_f32_e32 v9, v9, v11
	s_waitcnt lgkmcnt(0)
	v_div_scale_f32 v11, vcc, v13, v13, v9
	v_div_scale_f32 v12, vcc, v9, v13, v9
	v_rcp_f32_e32 v14, v11
	v_fma_f32 v15, -v11, v14, 1.0
	v_fmac_f32_e32 v14, v15, v14
	v_mul_f32_e32 v15, v12, v14
	v_fma_f32 v16, -v11, v15, v12
	v_fmac_f32_e32 v15, v16, v14
	v_fma_f32 v11, -v11, v15, v12
	v_div_fmas_f32 v11, v11, v14, v15
	v_div_fixup_f32 v9, v11, v13, v9
.LBB8_195:
	s_or_b64 exec, exec, s[42:43]
	ds_read_b32 v11, v3 offset:8192
	s_waitcnt vmcnt(0) lgkmcnt(0)
	v_mul_f32_e32 v12, v9, v11
	ds_bpermute_b32 v12, v4, v12
	s_waitcnt lgkmcnt(0)
	v_fmac_f32_e32 v12, v9, v11
	ds_bpermute_b32 v11, v5, v12
	s_waitcnt lgkmcnt(0)
	v_add_f32_e32 v11, v12, v11
	ds_bpermute_b32 v12, v6, v11
	s_waitcnt lgkmcnt(0)
	v_add_f32_e32 v11, v11, v12
	;; [unrolled: 3-line block ×3, first 2 shown]
	ds_bpermute_b32 v12, v8, v11
	s_and_saveexec_b64 s[42:43], s[6:7]
	s_cbranch_execz .LBB8_197
; %bb.196:
	v_mov_b32_e32 v13, 0
	ds_read_b32 v13, v13 offset:8320
	s_waitcnt lgkmcnt(1)
	v_add_f32_e32 v11, v11, v12
	v_sub_f32_e32 v10, v10, v11
	s_waitcnt lgkmcnt(0)
	v_div_scale_f32 v11, vcc, v13, v13, v10
	v_div_scale_f32 v12, vcc, v10, v13, v10
	v_rcp_f32_e32 v14, v11
	v_fma_f32 v15, -v11, v14, 1.0
	v_fmac_f32_e32 v14, v15, v14
	v_mul_f32_e32 v15, v12, v14
	v_fma_f32 v16, -v11, v15, v12
	v_fmac_f32_e32 v15, v16, v14
	v_fma_f32 v11, -v11, v15, v12
	v_div_fmas_f32 v11, v11, v14, v15
	v_div_fixup_f32 v10, v11, v13, v10
.LBB8_197:
	s_or_b64 exec, exec, s[42:43]
	ds_read_b32 v11, v3 offset:8448
	s_waitcnt lgkmcnt(0)
	v_mul_f32_e32 v11, v9, v11
	s_and_saveexec_b64 s[42:43], s[6:7]
	s_cbranch_execz .LBB8_199
; %bb.198:
	ds_read_b32 v12, v3 offset:8576
	s_waitcnt lgkmcnt(0)
	v_fmac_f32_e32 v11, v10, v12
.LBB8_199:
	s_or_b64 exec, exec, s[42:43]
	ds_bpermute_b32 v12, v4, v11
	s_waitcnt lgkmcnt(0)
	v_add_f32_e32 v11, v11, v12
	ds_bpermute_b32 v12, v5, v11
	s_waitcnt lgkmcnt(0)
	v_add_f32_e32 v11, v11, v12
	ds_bpermute_b32 v12, v6, v11
	s_waitcnt lgkmcnt(0)
	v_add_f32_e32 v11, v11, v12
	ds_bpermute_b32 v12, v7, v11
	s_waitcnt lgkmcnt(0)
	v_add_f32_e32 v11, v11, v12
	ds_bpermute_b32 v12, v8, v11
	s_and_saveexec_b64 s[6:7], s[72:73]
	s_cbranch_execz .LBB8_201
; %bb.200:
	v_mov_b32_e32 v13, 0
	ds_read_b32 v13, v13 offset:8580
	s_waitcnt lgkmcnt(1)
	v_add_f32_e32 v11, v11, v12
	v_sub_f32_e32 v10, v10, v11
	s_waitcnt lgkmcnt(0)
	v_div_scale_f32 v11, s[42:43], v13, v13, v10
	v_div_scale_f32 v12, vcc, v10, v13, v10
	v_rcp_f32_e32 v14, v11
	v_fma_f32 v15, -v11, v14, 1.0
	v_fmac_f32_e32 v14, v15, v14
	v_mul_f32_e32 v15, v12, v14
	v_fma_f32 v16, -v11, v15, v12
	v_fmac_f32_e32 v15, v16, v14
	v_fma_f32 v11, -v11, v15, v12
	v_div_fmas_f32 v11, v11, v14, v15
	v_div_fixup_f32 v10, v11, v13, v10
.LBB8_201:
	s_or_b64 exec, exec, s[6:7]
	ds_read_b32 v11, v3 offset:8704
	s_waitcnt lgkmcnt(0)
	v_mul_f32_e32 v11, v9, v11
	s_mov_b64 s[6:7], exec
	v_readlane_b32 s42, v17, 4
	v_readlane_b32 s43, v17, 5
	s_and_b64 s[42:43], s[6:7], s[42:43]
	s_mov_b64 exec, s[42:43]
	s_cbranch_execz .LBB8_203
; %bb.202:
	ds_read_b32 v12, v3 offset:8832
	s_waitcnt lgkmcnt(0)
	v_fmac_f32_e32 v11, v10, v12
.LBB8_203:
	s_or_b64 exec, exec, s[6:7]
	ds_bpermute_b32 v12, v4, v11
	s_waitcnt lgkmcnt(0)
	v_add_f32_e32 v11, v11, v12
	ds_bpermute_b32 v12, v5, v11
	s_waitcnt lgkmcnt(0)
	v_add_f32_e32 v11, v11, v12
	ds_bpermute_b32 v12, v6, v11
	s_waitcnt lgkmcnt(0)
	v_add_f32_e32 v11, v11, v12
	ds_bpermute_b32 v12, v7, v11
	s_waitcnt lgkmcnt(0)
	v_add_f32_e32 v11, v11, v12
	ds_bpermute_b32 v12, v8, v11
	s_and_saveexec_b64 s[6:7], s[74:75]
	s_cbranch_execz .LBB8_205
; %bb.204:
	v_mov_b32_e32 v13, 0
	ds_read_b32 v13, v13 offset:8840
	s_waitcnt lgkmcnt(1)
	v_add_f32_e32 v11, v11, v12
	v_sub_f32_e32 v10, v10, v11
	s_waitcnt lgkmcnt(0)
	v_div_scale_f32 v11, s[42:43], v13, v13, v10
	v_div_scale_f32 v12, vcc, v10, v13, v10
	v_rcp_f32_e32 v14, v11
	v_fma_f32 v15, -v11, v14, 1.0
	v_fmac_f32_e32 v14, v15, v14
	v_mul_f32_e32 v15, v12, v14
	v_fma_f32 v16, -v11, v15, v12
	v_fmac_f32_e32 v15, v16, v14
	v_fma_f32 v11, -v11, v15, v12
	v_div_fmas_f32 v11, v11, v14, v15
	v_div_fixup_f32 v10, v11, v13, v10
.LBB8_205:
	s_or_b64 exec, exec, s[6:7]
	ds_read_b32 v11, v3 offset:8960
	s_waitcnt lgkmcnt(0)
	v_mul_f32_e32 v11, v9, v11
	s_mov_b64 s[6:7], exec
	v_readlane_b32 s42, v17, 6
	v_readlane_b32 s43, v17, 7
	s_and_b64 s[42:43], s[6:7], s[42:43]
	s_mov_b64 exec, s[42:43]
	;; [unrolled: 50-line block ×18, first 2 shown]
	s_cbranch_execz .LBB8_271
; %bb.270:
	ds_read_b32 v12, v3 offset:13184
	s_waitcnt lgkmcnt(0)
	v_fmac_f32_e32 v11, v10, v12
.LBB8_271:
	s_or_b64 exec, exec, s[0:1]
	ds_bpermute_b32 v12, v4, v11
	s_waitcnt lgkmcnt(0)
	v_add_f32_e32 v11, v11, v12
	ds_bpermute_b32 v12, v5, v11
	s_waitcnt lgkmcnt(0)
	v_add_f32_e32 v11, v11, v12
	ds_bpermute_b32 v12, v6, v11
	s_waitcnt lgkmcnt(0)
	v_add_f32_e32 v11, v11, v12
	ds_bpermute_b32 v12, v7, v11
	s_waitcnt lgkmcnt(0)
	v_add_f32_e32 v11, v11, v12
	ds_bpermute_b32 v12, v8, v11
	s_and_saveexec_b64 s[0:1], s[16:17]
	s_cbranch_execz .LBB8_273
; %bb.272:
	v_mov_b32_e32 v13, 0
	ds_read_b32 v13, v13 offset:13260
	s_waitcnt lgkmcnt(1)
	v_add_f32_e32 v11, v11, v12
	v_sub_f32_e32 v10, v10, v11
	s_waitcnt lgkmcnt(0)
	v_div_scale_f32 v11, s[2:3], v13, v13, v10
	v_div_scale_f32 v12, vcc, v10, v13, v10
	v_rcp_f32_e32 v14, v11
	v_fma_f32 v15, -v11, v14, 1.0
	v_fmac_f32_e32 v14, v15, v14
	v_mul_f32_e32 v15, v12, v14
	v_fma_f32 v16, -v11, v15, v12
	v_fmac_f32_e32 v15, v16, v14
	v_fma_f32 v11, -v11, v15, v12
	v_div_fmas_f32 v11, v11, v14, v15
	v_div_fixup_f32 v10, v11, v13, v10
.LBB8_273:
	s_or_b64 exec, exec, s[0:1]
	ds_read_b32 v11, v3 offset:13312
	s_waitcnt lgkmcnt(0)
	v_mul_f32_e32 v11, v9, v11
	s_and_saveexec_b64 s[0:1], s[50:51]
	s_cbranch_execz .LBB8_275
; %bb.274:
	ds_read_b32 v12, v3 offset:13440
	s_waitcnt lgkmcnt(0)
	v_fmac_f32_e32 v11, v10, v12
.LBB8_275:
	s_or_b64 exec, exec, s[0:1]
	ds_bpermute_b32 v12, v4, v11
	s_waitcnt lgkmcnt(0)
	v_add_f32_e32 v11, v11, v12
	ds_bpermute_b32 v12, v5, v11
	s_waitcnt lgkmcnt(0)
	v_add_f32_e32 v11, v11, v12
	ds_bpermute_b32 v12, v6, v11
	s_waitcnt lgkmcnt(0)
	v_add_f32_e32 v11, v11, v12
	ds_bpermute_b32 v12, v7, v11
	s_waitcnt lgkmcnt(0)
	v_add_f32_e32 v11, v11, v12
	ds_bpermute_b32 v12, v8, v11
	s_and_saveexec_b64 s[0:1], s[18:19]
	s_cbranch_execz .LBB8_277
; %bb.276:
	v_mov_b32_e32 v13, 0
	ds_read_b32 v13, v13 offset:13520
	s_waitcnt lgkmcnt(1)
	v_add_f32_e32 v11, v11, v12
	v_sub_f32_e32 v10, v10, v11
	s_waitcnt lgkmcnt(0)
	v_div_scale_f32 v11, s[2:3], v13, v13, v10
	v_div_scale_f32 v12, vcc, v10, v13, v10
	v_rcp_f32_e32 v14, v11
	v_fma_f32 v15, -v11, v14, 1.0
	v_fmac_f32_e32 v14, v15, v14
	v_mul_f32_e32 v15, v12, v14
	v_fma_f32 v16, -v11, v15, v12
	v_fmac_f32_e32 v15, v16, v14
	v_fma_f32 v11, -v11, v15, v12
	v_div_fmas_f32 v11, v11, v14, v15
	v_div_fixup_f32 v10, v11, v13, v10
.LBB8_277:
	s_or_b64 exec, exec, s[0:1]
	ds_read_b32 v11, v3 offset:13568
	s_waitcnt lgkmcnt(0)
	v_mul_f32_e32 v11, v9, v11
	s_and_saveexec_b64 s[0:1], s[52:53]
	;; [unrolled: 46-line block ×11, first 2 shown]
	s_cbranch_execz .LBB8_315
; %bb.314:
	ds_read_b32 v12, v3 offset:16000
	s_waitcnt lgkmcnt(0)
	v_fmac_f32_e32 v11, v10, v12
.LBB8_315:
	s_or_b64 exec, exec, s[0:1]
	ds_bpermute_b32 v12, v4, v11
	s_waitcnt lgkmcnt(0)
	v_add_f32_e32 v11, v11, v12
	ds_bpermute_b32 v12, v5, v11
	s_waitcnt lgkmcnt(0)
	v_add_f32_e32 v11, v11, v12
	;; [unrolled: 3-line block ×4, first 2 shown]
	ds_bpermute_b32 v12, v8, v11
	s_and_saveexec_b64 s[0:1], s[40:41]
	s_cbranch_execz .LBB8_317
; %bb.316:
	v_mov_b32_e32 v13, 0
	ds_read_b32 v13, v13 offset:16120
	s_waitcnt lgkmcnt(1)
	v_add_f32_e32 v11, v11, v12
	v_sub_f32_e32 v10, v10, v11
	s_waitcnt lgkmcnt(0)
	v_div_scale_f32 v11, s[2:3], v13, v13, v10
	v_div_scale_f32 v12, vcc, v10, v13, v10
	v_rcp_f32_e32 v14, v11
	v_fma_f32 v15, -v11, v14, 1.0
	v_fmac_f32_e32 v14, v15, v14
	v_mul_f32_e32 v15, v12, v14
	v_fma_f32 v16, -v11, v15, v12
	v_fmac_f32_e32 v15, v16, v14
	v_fma_f32 v11, -v11, v15, v12
	v_div_fmas_f32 v11, v11, v14, v15
	v_div_fixup_f32 v10, v11, v13, v10
.LBB8_317:
	s_or_b64 exec, exec, s[0:1]
	ds_read_b32 v11, v3 offset:16128
	s_load_dwordx2 s[0:1], s[4:5], 0x10
	s_waitcnt lgkmcnt(0)
	v_mul_f32_e32 v11, v9, v11
	s_mov_b64 s[2:3], exec
	v_readlane_b32 s4, v17, 40
	v_readlane_b32 s5, v17, 41
	s_and_b64 s[4:5], s[2:3], s[4:5]
	s_mov_b64 exec, s[4:5]
	s_cbranch_execz .LBB8_319
; %bb.318:
	ds_read_b32 v3, v3 offset:16256
	s_waitcnt lgkmcnt(0)
	v_fmac_f32_e32 v11, v10, v3
.LBB8_319:
	s_or_b64 exec, exec, s[2:3]
	ds_bpermute_b32 v3, v4, v11
	s_waitcnt lgkmcnt(0)
	v_add_f32_e32 v3, v11, v3
	ds_bpermute_b32 v4, v5, v3
	s_waitcnt lgkmcnt(0)
	v_add_f32_e32 v3, v3, v4
	;; [unrolled: 3-line block ×4, first 2 shown]
	ds_bpermute_b32 v4, v8, v3
	s_mov_b64 s[2:3], exec
	v_readlane_b32 s4, v17, 42
	v_readlane_b32 s5, v17, 43
	s_and_b64 s[4:5], s[2:3], s[4:5]
	s_mov_b64 exec, s[4:5]
	s_cbranch_execz .LBB8_321
; %bb.320:
	v_mov_b32_e32 v5, 0
	ds_read_b32 v5, v5 offset:16380
	s_waitcnt lgkmcnt(1)
	v_add_f32_e32 v3, v3, v4
	v_sub_f32_e32 v3, v10, v3
	s_waitcnt lgkmcnt(0)
	v_div_scale_f32 v4, s[4:5], v5, v5, v3
	v_div_scale_f32 v6, vcc, v3, v5, v3
	v_rcp_f32_e32 v7, v4
	v_fma_f32 v8, -v4, v7, 1.0
	v_fmac_f32_e32 v7, v8, v7
	v_mul_f32_e32 v8, v6, v7
	v_fma_f32 v10, -v4, v8, v6
	v_fmac_f32_e32 v8, v10, v7
	v_fma_f32 v4, -v4, v8, v6
	v_div_fmas_f32 v4, v4, v7, v8
	v_div_fixup_f32 v10, v4, v5, v3
.LBB8_321:
	s_or_b64 exec, exec, s[2:3]
	s_mul_i32 s2, s45, s48
	s_mul_hi_u32 s3, s44, s48
	s_add_i32 s3, s3, s2
	s_mul_i32 s2, s44, s48
	s_mul_i32 s4, s47, s33
	s_mul_hi_u32 s5, s46, s33
	s_add_i32 s5, s5, s4
	s_lshl_b64 s[2:3], s[2:3], 2
	s_mul_i32 s4, s46, s33
	s_add_u32 s2, s0, s2
	s_addc_u32 s3, s1, s3
	s_lshl_b64 s[0:1], s[4:5], 2
	s_add_u32 s0, s2, s0
	s_addc_u32 s1, s3, s1
	s_mov_b64 s[2:3], exec
	v_readlane_b32 s4, v17, 0
	v_readlane_b32 s5, v17, 1
	s_and_b64 s[4:5], s[2:3], s[4:5]
	s_mov_b64 exec, s[4:5]
	s_cbranch_execz .LBB8_323
; %bb.322:
	v_readlane_b32 s4, v17, 2
	v_readlane_b32 s5, v17, 3
	v_lshl_or_b32 v0, v0, 4, v1
	v_cndmask_b32_e64 v3, v10, v9, s[4:5]
	global_store_dword v0, v3, s[0:1]
.LBB8_323:
	s_or_b64 exec, exec, s[2:3]
	v_readlane_b32 s2, v17, 2
	v_readlane_b32 s3, v17, 3
	s_and_b64 exec, exec, s[2:3]
	s_cbranch_execz .LBB8_325
; %bb.324:
	v_lshl_or_b32 v0, v2, 4, v1
	global_store_dword v0, v10, s[0:1]
.LBB8_325:
	s_endpgm
	.section	.rodata,"a",@progbits
	.p2align	6, 0x0
	.amdhsa_kernel _ZL18solve_tri_f32_fastILi64ELi4EEvPKfS1_Pf15HIP_vector_typeIjLj3EEmmmmmmii
		.amdhsa_group_segment_fixed_size 16384
		.amdhsa_private_segment_fixed_size 0
		.amdhsa_kernarg_size 352
		.amdhsa_user_sgpr_count 6
		.amdhsa_user_sgpr_private_segment_buffer 1
		.amdhsa_user_sgpr_dispatch_ptr 0
		.amdhsa_user_sgpr_queue_ptr 0
		.amdhsa_user_sgpr_kernarg_segment_ptr 1
		.amdhsa_user_sgpr_dispatch_id 0
		.amdhsa_user_sgpr_flat_scratch_init 0
		.amdhsa_user_sgpr_private_segment_size 0
		.amdhsa_uses_dynamic_stack 0
		.amdhsa_system_sgpr_private_segment_wavefront_offset 0
		.amdhsa_system_sgpr_workgroup_id_x 1
		.amdhsa_system_sgpr_workgroup_id_y 0
		.amdhsa_system_sgpr_workgroup_id_z 0
		.amdhsa_system_sgpr_workgroup_info 0
		.amdhsa_system_vgpr_workitem_id 1
		.amdhsa_next_free_vgpr 29
		.amdhsa_next_free_sgpr 96
		.amdhsa_reserve_vcc 1
		.amdhsa_reserve_flat_scratch 0
		.amdhsa_float_round_mode_32 0
		.amdhsa_float_round_mode_16_64 0
		.amdhsa_float_denorm_mode_32 3
		.amdhsa_float_denorm_mode_16_64 3
		.amdhsa_dx10_clamp 1
		.amdhsa_ieee_mode 1
		.amdhsa_fp16_overflow 0
		.amdhsa_exception_fp_ieee_invalid_op 0
		.amdhsa_exception_fp_denorm_src 0
		.amdhsa_exception_fp_ieee_div_zero 0
		.amdhsa_exception_fp_ieee_overflow 0
		.amdhsa_exception_fp_ieee_underflow 0
		.amdhsa_exception_fp_ieee_inexact 0
		.amdhsa_exception_int_div_zero 0
	.end_amdhsa_kernel
	.section	.text._ZL18solve_tri_f32_fastILi64ELi4EEvPKfS1_Pf15HIP_vector_typeIjLj3EEmmmmmmii,"axG",@progbits,_ZL18solve_tri_f32_fastILi64ELi4EEvPKfS1_Pf15HIP_vector_typeIjLj3EEmmmmmmii,comdat
.Lfunc_end8:
	.size	_ZL18solve_tri_f32_fastILi64ELi4EEvPKfS1_Pf15HIP_vector_typeIjLj3EEmmmmmmii, .Lfunc_end8-_ZL18solve_tri_f32_fastILi64ELi4EEvPKfS1_Pf15HIP_vector_typeIjLj3EEmmmmmmii
                                        ; -- End function
	.set _ZL18solve_tri_f32_fastILi64ELi4EEvPKfS1_Pf15HIP_vector_typeIjLj3EEmmmmmmii.num_vgpr, 18
	.set _ZL18solve_tri_f32_fastILi64ELi4EEvPKfS1_Pf15HIP_vector_typeIjLj3EEmmmmmmii.num_agpr, 0
	.set _ZL18solve_tri_f32_fastILi64ELi4EEvPKfS1_Pf15HIP_vector_typeIjLj3EEmmmmmmii.numbered_sgpr, 96
	.set _ZL18solve_tri_f32_fastILi64ELi4EEvPKfS1_Pf15HIP_vector_typeIjLj3EEmmmmmmii.num_named_barrier, 0
	.set _ZL18solve_tri_f32_fastILi64ELi4EEvPKfS1_Pf15HIP_vector_typeIjLj3EEmmmmmmii.private_seg_size, 0
	.set _ZL18solve_tri_f32_fastILi64ELi4EEvPKfS1_Pf15HIP_vector_typeIjLj3EEmmmmmmii.uses_vcc, 1
	.set _ZL18solve_tri_f32_fastILi64ELi4EEvPKfS1_Pf15HIP_vector_typeIjLj3EEmmmmmmii.uses_flat_scratch, 0
	.set _ZL18solve_tri_f32_fastILi64ELi4EEvPKfS1_Pf15HIP_vector_typeIjLj3EEmmmmmmii.has_dyn_sized_stack, 0
	.set _ZL18solve_tri_f32_fastILi64ELi4EEvPKfS1_Pf15HIP_vector_typeIjLj3EEmmmmmmii.has_recursion, 0
	.set _ZL18solve_tri_f32_fastILi64ELi4EEvPKfS1_Pf15HIP_vector_typeIjLj3EEmmmmmmii.has_indirect_call, 0
	.section	.AMDGPU.csdata,"",@progbits
; Kernel info:
; codeLenInByte = 18012
; TotalNumSgprs: 100
; NumVgprs: 18
; ScratchSize: 0
; MemoryBound: 0
; FloatMode: 240
; IeeeMode: 1
; LDSByteSize: 16384 bytes/workgroup (compile time only)
; SGPRBlocks: 12
; VGPRBlocks: 7
; NumSGPRsForWavesPerEU: 100
; NumVGPRsForWavesPerEU: 29
; Occupancy: 8
; WaveLimiterHint : 0
; COMPUTE_PGM_RSRC2:SCRATCH_EN: 0
; COMPUTE_PGM_RSRC2:USER_SGPR: 6
; COMPUTE_PGM_RSRC2:TRAP_HANDLER: 0
; COMPUTE_PGM_RSRC2:TGID_X_EN: 1
; COMPUTE_PGM_RSRC2:TGID_Y_EN: 0
; COMPUTE_PGM_RSRC2:TGID_Z_EN: 0
; COMPUTE_PGM_RSRC2:TIDIG_COMP_CNT: 1
	.section	.text._ZL18solve_tri_f32_fastILi64ELi2EEvPKfS1_Pf15HIP_vector_typeIjLj3EEmmmmmmii,"axG",@progbits,_ZL18solve_tri_f32_fastILi64ELi2EEvPKfS1_Pf15HIP_vector_typeIjLj3EEmmmmmmii,comdat
	.globl	_ZL18solve_tri_f32_fastILi64ELi2EEvPKfS1_Pf15HIP_vector_typeIjLj3EEmmmmmmii ; -- Begin function _ZL18solve_tri_f32_fastILi64ELi2EEvPKfS1_Pf15HIP_vector_typeIjLj3EEmmmmmmii
	.p2align	8
	.type	_ZL18solve_tri_f32_fastILi64ELi2EEvPKfS1_Pf15HIP_vector_typeIjLj3EEmmmmmmii,@function
_ZL18solve_tri_f32_fastILi64ELi2EEvPKfS1_Pf15HIP_vector_typeIjLj3EEmmmmmmii: ; @_ZL18solve_tri_f32_fastILi64ELi2EEvPKfS1_Pf15HIP_vector_typeIjLj3EEmmmmmmii
; %bb.0:
	v_cmp_gt_u32_e32 vcc, 2, v1
	s_and_saveexec_b64 s[0:1], vcc
	s_cbranch_execz .LBB9_389
; %bb.1:
	s_load_dwordx4 s[0:3], s[4:5], 0x18
	s_load_dwordx2 s[16:17], s[4:5], 0x0
	s_load_dwordx8 s[8:15], s[4:5], 0x28
	s_waitcnt lgkmcnt(0)
	s_mul_hi_u32 s0, s0, s6
	s_add_i32 s0, s6, s0
	s_lshr_b32 s33, s0, s1
	s_mul_i32 s0, s33, s2
	s_sub_i32 s48, s6, s0
	s_mul_i32 s1, s9, s48
	s_mul_hi_u32 s2, s8, s48
	s_mul_i32 s0, s8, s48
	s_add_i32 s1, s2, s1
	s_lshl_b64 s[0:1], s[0:1], 2
	s_add_u32 s2, s16, s0
	s_load_dword s6, s[4:5], 0x6c
	s_addc_u32 s3, s17, s1
	s_mul_i32 s0, s11, s33
	s_mul_hi_u32 s1, s10, s33
	s_add_i32 s1, s1, s0
	s_mul_i32 s0, s10, s33
	s_lshl_b64 s[0:1], s[0:1], 2
	s_add_u32 s0, s2, s0
	s_addc_u32 s1, s3, s1
	s_waitcnt lgkmcnt(0)
	s_and_b32 s2, s6, 0xffff
	v_mad_u32_u24 v3, v1, s2, v0
	s_movk_i32 s2, 0x1000
	v_cmp_gt_u32_e32 vcc, s2, v3
	v_lshlrev_b32_e32 v2, 2, v3
	s_and_saveexec_b64 s[2:3], vcc
	s_cbranch_execz .LBB9_3
; %bb.2:
	global_load_dword v4, v2, s[0:1]
	s_waitcnt vmcnt(0)
	ds_write_b32 v2, v4
.LBB9_3:
	s_or_b64 exec, exec, s[2:3]
	s_movk_i32 s2, 0xfc0
	v_cmp_gt_u32_e32 vcc, s2, v3
	s_and_saveexec_b64 s[2:3], vcc
	s_cbranch_execz .LBB9_5
; %bb.4:
	global_load_dword v4, v2, s[0:1] offset:256
	s_waitcnt vmcnt(0)
	ds_write_b32 v2, v4 offset:256
.LBB9_5:
	s_or_b64 exec, exec, s[2:3]
	s_movk_i32 s2, 0xf80
	v_cmp_gt_u32_e32 vcc, s2, v3
	s_and_saveexec_b64 s[2:3], vcc
	s_cbranch_execz .LBB9_7
; %bb.6:
	global_load_dword v4, v2, s[0:1] offset:512
	s_waitcnt vmcnt(0)
	ds_write_b32 v2, v4 offset:512
.LBB9_7:
	;; [unrolled: 10-line block ×15, first 2 shown]
	s_or_b64 exec, exec, s[2:3]
	s_movk_i32 s2, 0xc00
	v_cmp_gt_u32_e32 vcc, s2, v3
	s_and_saveexec_b64 s[2:3], vcc
	s_cbranch_execz .LBB9_35
; %bb.34:
	v_add_u32_e32 v4, 0x1000, v2
	global_load_dword v4, v4, s[0:1]
	s_waitcnt vmcnt(0)
	ds_write_b32 v2, v4 offset:4096
.LBB9_35:
	s_or_b64 exec, exec, s[2:3]
	s_movk_i32 s2, 0xbc0
	v_cmp_gt_u32_e32 vcc, s2, v3
	s_and_saveexec_b64 s[2:3], vcc
	s_cbranch_execz .LBB9_37
; %bb.36:
	v_add_u32_e32 v4, 0x1100, v2
	global_load_dword v4, v4, s[0:1]
	s_waitcnt vmcnt(0)
	ds_write_b32 v2, v4 offset:4352
.LBB9_37:
	s_or_b64 exec, exec, s[2:3]
	s_movk_i32 s2, 0xb80
	v_cmp_gt_u32_e32 vcc, s2, v3
	s_and_saveexec_b64 s[2:3], vcc
	s_cbranch_execz .LBB9_39
; %bb.38:
	v_add_u32_e32 v4, 0x1200, v2
	global_load_dword v4, v4, s[0:1]
	s_waitcnt vmcnt(0)
	ds_write_b32 v2, v4 offset:4608
.LBB9_39:
	s_or_b64 exec, exec, s[2:3]
	s_movk_i32 s2, 0xb40
	v_cmp_gt_u32_e32 vcc, s2, v3
	s_and_saveexec_b64 s[2:3], vcc
	s_cbranch_execz .LBB9_41
; %bb.40:
	v_add_u32_e32 v4, 0x1300, v2
	global_load_dword v4, v4, s[0:1]
	s_waitcnt vmcnt(0)
	ds_write_b32 v2, v4 offset:4864
.LBB9_41:
	s_or_b64 exec, exec, s[2:3]
	s_movk_i32 s2, 0xb00
	v_cmp_gt_u32_e32 vcc, s2, v3
	s_and_saveexec_b64 s[2:3], vcc
	s_cbranch_execz .LBB9_43
; %bb.42:
	v_add_u32_e32 v4, 0x1400, v2
	global_load_dword v4, v4, s[0:1]
	s_waitcnt vmcnt(0)
	ds_write_b32 v2, v4 offset:5120
.LBB9_43:
	s_or_b64 exec, exec, s[2:3]
	s_movk_i32 s2, 0xac0
	v_cmp_gt_u32_e32 vcc, s2, v3
	s_and_saveexec_b64 s[2:3], vcc
	s_cbranch_execz .LBB9_45
; %bb.44:
	v_add_u32_e32 v4, 0x1500, v2
	global_load_dword v4, v4, s[0:1]
	s_waitcnt vmcnt(0)
	ds_write_b32 v2, v4 offset:5376
.LBB9_45:
	s_or_b64 exec, exec, s[2:3]
	s_movk_i32 s2, 0xa80
	v_cmp_gt_u32_e32 vcc, s2, v3
	s_and_saveexec_b64 s[2:3], vcc
	s_cbranch_execz .LBB9_47
; %bb.46:
	v_add_u32_e32 v4, 0x1600, v2
	global_load_dword v4, v4, s[0:1]
	s_waitcnt vmcnt(0)
	ds_write_b32 v2, v4 offset:5632
.LBB9_47:
	s_or_b64 exec, exec, s[2:3]
	s_movk_i32 s2, 0xa40
	v_cmp_gt_u32_e32 vcc, s2, v3
	s_and_saveexec_b64 s[2:3], vcc
	s_cbranch_execz .LBB9_49
; %bb.48:
	v_add_u32_e32 v4, 0x1700, v2
	global_load_dword v4, v4, s[0:1]
	s_waitcnt vmcnt(0)
	ds_write_b32 v2, v4 offset:5888
.LBB9_49:
	s_or_b64 exec, exec, s[2:3]
	s_movk_i32 s2, 0xa00
	v_cmp_gt_u32_e32 vcc, s2, v3
	s_and_saveexec_b64 s[2:3], vcc
	s_cbranch_execz .LBB9_51
; %bb.50:
	v_add_u32_e32 v4, 0x1800, v2
	global_load_dword v4, v4, s[0:1]
	s_waitcnt vmcnt(0)
	ds_write_b32 v2, v4 offset:6144
.LBB9_51:
	s_or_b64 exec, exec, s[2:3]
	s_movk_i32 s2, 0x9c0
	v_cmp_gt_u32_e32 vcc, s2, v3
	s_and_saveexec_b64 s[2:3], vcc
	s_cbranch_execz .LBB9_53
; %bb.52:
	v_add_u32_e32 v4, 0x1900, v2
	global_load_dword v4, v4, s[0:1]
	s_waitcnt vmcnt(0)
	ds_write_b32 v2, v4 offset:6400
.LBB9_53:
	s_or_b64 exec, exec, s[2:3]
	s_movk_i32 s2, 0x980
	v_cmp_gt_u32_e32 vcc, s2, v3
	s_and_saveexec_b64 s[2:3], vcc
	s_cbranch_execz .LBB9_55
; %bb.54:
	v_add_u32_e32 v4, 0x1a00, v2
	global_load_dword v4, v4, s[0:1]
	s_waitcnt vmcnt(0)
	ds_write_b32 v2, v4 offset:6656
.LBB9_55:
	s_or_b64 exec, exec, s[2:3]
	s_movk_i32 s2, 0x940
	v_cmp_gt_u32_e32 vcc, s2, v3
	s_and_saveexec_b64 s[2:3], vcc
	s_cbranch_execz .LBB9_57
; %bb.56:
	v_add_u32_e32 v4, 0x1b00, v2
	global_load_dword v4, v4, s[0:1]
	s_waitcnt vmcnt(0)
	ds_write_b32 v2, v4 offset:6912
.LBB9_57:
	s_or_b64 exec, exec, s[2:3]
	s_movk_i32 s2, 0x900
	v_cmp_gt_u32_e32 vcc, s2, v3
	s_and_saveexec_b64 s[2:3], vcc
	s_cbranch_execz .LBB9_59
; %bb.58:
	v_add_u32_e32 v4, 0x1c00, v2
	global_load_dword v4, v4, s[0:1]
	s_waitcnt vmcnt(0)
	ds_write_b32 v2, v4 offset:7168
.LBB9_59:
	s_or_b64 exec, exec, s[2:3]
	s_movk_i32 s2, 0x8c0
	v_cmp_gt_u32_e32 vcc, s2, v3
	s_and_saveexec_b64 s[2:3], vcc
	s_cbranch_execz .LBB9_61
; %bb.60:
	v_add_u32_e32 v4, 0x1d00, v2
	global_load_dword v4, v4, s[0:1]
	s_waitcnt vmcnt(0)
	ds_write_b32 v2, v4 offset:7424
.LBB9_61:
	s_or_b64 exec, exec, s[2:3]
	s_movk_i32 s2, 0x880
	v_cmp_gt_u32_e32 vcc, s2, v3
	s_and_saveexec_b64 s[2:3], vcc
	s_cbranch_execz .LBB9_63
; %bb.62:
	v_add_u32_e32 v4, 0x1e00, v2
	global_load_dword v4, v4, s[0:1]
	s_waitcnt vmcnt(0)
	ds_write_b32 v2, v4 offset:7680
.LBB9_63:
	s_or_b64 exec, exec, s[2:3]
	s_movk_i32 s2, 0x840
	v_cmp_gt_u32_e32 vcc, s2, v3
	s_and_saveexec_b64 s[2:3], vcc
	s_cbranch_execz .LBB9_65
; %bb.64:
	v_add_u32_e32 v4, 0x1f00, v2
	global_load_dword v4, v4, s[0:1]
	s_waitcnt vmcnt(0)
	ds_write_b32 v2, v4 offset:7936
.LBB9_65:
	s_or_b64 exec, exec, s[2:3]
	s_movk_i32 s2, 0x800
	v_cmp_gt_u32_e32 vcc, s2, v3
	s_and_saveexec_b64 s[2:3], vcc
	s_cbranch_execz .LBB9_67
; %bb.66:
	v_or_b32_e32 v4, 0x2000, v2
	global_load_dword v4, v4, s[0:1]
	s_waitcnt vmcnt(0)
	ds_write_b32 v2, v4 offset:8192
.LBB9_67:
	s_or_b64 exec, exec, s[2:3]
	s_movk_i32 s2, 0x7c0
	v_cmp_gt_u32_e32 vcc, s2, v3
	s_and_saveexec_b64 s[2:3], vcc
	s_cbranch_execz .LBB9_69
; %bb.68:
	v_add_u32_e32 v4, 0x2100, v2
	global_load_dword v4, v4, s[0:1]
	s_waitcnt vmcnt(0)
	ds_write_b32 v2, v4 offset:8448
.LBB9_69:
	s_or_b64 exec, exec, s[2:3]
	s_movk_i32 s2, 0x780
	v_cmp_gt_u32_e32 vcc, s2, v3
	s_and_saveexec_b64 s[2:3], vcc
	s_cbranch_execz .LBB9_71
; %bb.70:
	v_add_u32_e32 v4, 0x2200, v2
	global_load_dword v4, v4, s[0:1]
	s_waitcnt vmcnt(0)
	ds_write_b32 v2, v4 offset:8704
.LBB9_71:
	;; [unrolled: 11-line block ×15, first 2 shown]
	s_or_b64 exec, exec, s[2:3]
	s_movk_i32 s2, 0x400
	v_cmp_gt_u32_e32 vcc, s2, v3
	s_and_saveexec_b64 s[2:3], vcc
	s_cbranch_execz .LBB9_99
; %bb.98:
	v_or_b32_e32 v4, 0x3000, v2
	global_load_dword v4, v4, s[0:1]
	s_waitcnt vmcnt(0)
	ds_write_b32 v2, v4 offset:12288
.LBB9_99:
	s_or_b64 exec, exec, s[2:3]
	s_movk_i32 s2, 0x3c0
	v_cmp_gt_u32_e32 vcc, s2, v3
	s_and_saveexec_b64 s[2:3], vcc
	s_cbranch_execz .LBB9_101
; %bb.100:
	v_add_u32_e32 v4, 0x3100, v2
	global_load_dword v4, v4, s[0:1]
	s_waitcnt vmcnt(0)
	ds_write_b32 v2, v4 offset:12544
.LBB9_101:
	s_or_b64 exec, exec, s[2:3]
	s_movk_i32 s2, 0x380
	v_cmp_gt_u32_e32 vcc, s2, v3
	s_and_saveexec_b64 s[2:3], vcc
	s_cbranch_execz .LBB9_103
; %bb.102:
	v_add_u32_e32 v4, 0x3200, v2
	global_load_dword v4, v4, s[0:1]
	s_waitcnt vmcnt(0)
	ds_write_b32 v2, v4 offset:12800
.LBB9_103:
	;; [unrolled: 11-line block ×7, first 2 shown]
	s_or_b64 exec, exec, s[2:3]
	s_movk_i32 s2, 0x200
	v_cmp_gt_u32_e32 vcc, s2, v3
	s_and_saveexec_b64 s[2:3], vcc
	s_cbranch_execz .LBB9_115
; %bb.114:
	v_or_b32_e32 v4, 0x3800, v2
	global_load_dword v4, v4, s[0:1]
	s_waitcnt vmcnt(0)
	ds_write_b32 v2, v4 offset:14336
.LBB9_115:
	s_or_b64 exec, exec, s[2:3]
	s_movk_i32 s2, 0x1c0
	v_cmp_gt_u32_e32 vcc, s2, v3
	s_and_saveexec_b64 s[2:3], vcc
	s_cbranch_execz .LBB9_117
; %bb.116:
	v_add_u32_e32 v4, 0x3900, v2
	global_load_dword v4, v4, s[0:1]
	s_waitcnt vmcnt(0)
	ds_write_b32 v2, v4 offset:14592
.LBB9_117:
	s_or_b64 exec, exec, s[2:3]
	s_movk_i32 s2, 0x180
	v_cmp_gt_u32_e32 vcc, s2, v3
	s_and_saveexec_b64 s[2:3], vcc
	s_cbranch_execz .LBB9_119
; %bb.118:
	v_add_u32_e32 v4, 0x3a00, v2
	global_load_dword v4, v4, s[0:1]
	s_waitcnt vmcnt(0)
	ds_write_b32 v2, v4 offset:14848
.LBB9_119:
	;; [unrolled: 11-line block ×3, first 2 shown]
	s_or_b64 exec, exec, s[2:3]
	s_movk_i32 s2, 0x100
	v_cmp_gt_u32_e32 vcc, s2, v3
	s_and_saveexec_b64 s[2:3], vcc
	s_cbranch_execz .LBB9_123
; %bb.122:
	v_or_b32_e32 v4, 0x3c00, v2
	global_load_dword v4, v4, s[0:1]
	s_waitcnt vmcnt(0)
	ds_write_b32 v2, v4 offset:15360
.LBB9_123:
	s_or_b64 exec, exec, s[2:3]
	s_load_dwordx4 s[44:47], s[4:5], 0x48
	s_movk_i32 s2, 0xc0
	v_cmp_gt_u32_e32 vcc, s2, v3
	s_and_saveexec_b64 s[2:3], vcc
	s_cbranch_execz .LBB9_125
; %bb.124:
	v_add_u32_e32 v4, 0x3d00, v2
	global_load_dword v4, v4, s[0:1]
	s_waitcnt vmcnt(0)
	ds_write_b32 v2, v4 offset:15616
.LBB9_125:
	s_or_b64 exec, exec, s[2:3]
	s_load_dwordx2 s[2:3], s[4:5], 0x8
	s_movk_i32 s6, 0x80
	v_cmp_gt_u32_e32 vcc, s6, v3
	s_and_saveexec_b64 s[6:7], vcc
	s_cbranch_execz .LBB9_127
; %bb.126:
	v_or_b32_e32 v4, 0x3e00, v2
	global_load_dword v4, v4, s[0:1]
	s_waitcnt vmcnt(0)
	ds_write_b32 v2, v4 offset:15872
.LBB9_127:
	s_or_b64 exec, exec, s[6:7]
	v_cmp_gt_u32_e32 vcc, 64, v3
	s_and_saveexec_b64 s[6:7], vcc
	s_cbranch_execz .LBB9_129
; %bb.128:
	v_or_b32_e32 v3, 0x3f00, v2
	global_load_dword v3, v3, s[0:1]
	s_waitcnt vmcnt(0)
	ds_write_b32 v2, v3 offset:16128
.LBB9_129:
	s_or_b64 exec, exec, s[6:7]
	s_mul_i32 s0, s13, s48
	s_mul_hi_u32 s1, s12, s48
	s_add_i32 s1, s1, s0
	s_mul_i32 s0, s12, s48
	s_mul_i32 s6, s15, s33
	s_mul_hi_u32 s7, s14, s33
	s_add_i32 s7, s7, s6
	s_lshl_b64 s[0:1], s[0:1], 2
	s_mul_i32 s6, s14, s33
	s_waitcnt lgkmcnt(0)
	s_add_u32 s2, s2, s0
	s_addc_u32 s3, s3, s1
	s_lshl_b64 s[0:1], s[6:7], 2
	s_add_u32 s0, s2, s0
	s_addc_u32 s1, s3, s1
	v_mov_b32_e32 v10, 0
	v_lshlrev_b32_e32 v1, 2, v1
	v_mov_b32_e32 v9, 0
	s_barrier
	v_cmp_gt_u32_e64 s[6:7], 64, v0
	s_mov_b64 s[2:3], exec
                                        ; implicit-def: $vgpr17 : SGPR spill to VGPR lane
	v_writelane_b32 v17, s6, 0
	v_writelane_b32 v17, s7, 1
	s_and_b64 s[6:7], s[2:3], s[6:7]
	s_mov_b64 exec, s[6:7]
	s_cbranch_execz .LBB9_131
; %bb.130:
	v_lshl_or_b32 v2, v0, 3, v1
	global_load_dword v9, v2, s[0:1]
.LBB9_131:
	s_or_b64 exec, exec, s[2:3]
	v_add_u32_e32 v2, 32, v0
	v_cmp_gt_u32_e64 s[6:7], 32, v0
	s_mov_b64 s[2:3], exec
	v_writelane_b32 v17, s6, 2
	v_writelane_b32 v17, s7, 3
	s_and_b64 s[6:7], s[2:3], s[6:7]
	s_mov_b64 exec, s[6:7]
	s_cbranch_execz .LBB9_133
; %bb.132:
	v_lshl_or_b32 v3, v2, 3, v1
	global_load_dword v10, v3, s[0:1]
.LBB9_133:
	s_or_b64 exec, exec, s[2:3]
	v_cmp_eq_u32_e64 s[6:7], 0, v0
	s_and_saveexec_b64 s[0:1], s[6:7]
	s_cbranch_execz .LBB9_135
; %bb.134:
	v_mov_b32_e32 v3, 0
	ds_read_b32 v3, v3
	s_waitcnt vmcnt(0) lgkmcnt(0)
	v_div_scale_f32 v4, s[2:3], v3, v3, v9
	v_div_scale_f32 v5, vcc, v9, v3, v9
	v_rcp_f32_e32 v6, v4
	v_fma_f32 v7, -v4, v6, 1.0
	v_fmac_f32_e32 v6, v7, v6
	v_mul_f32_e32 v7, v5, v6
	v_fma_f32 v8, -v4, v7, v5
	v_fmac_f32_e32 v7, v8, v6
	v_fma_f32 v4, -v4, v7, v5
	v_div_fmas_f32 v4, v4, v6, v7
	v_div_fixup_f32 v9, v4, v3, v9
.LBB9_135:
	s_or_b64 exec, exec, s[0:1]
	v_lshlrev_b32_e32 v3, 2, v0
	v_mov_b32_e32 v6, 0
	s_and_saveexec_b64 s[0:1], s[6:7]
	s_cbranch_execz .LBB9_137
; %bb.136:
	ds_read_b32 v4, v3 offset:256
	s_waitcnt vmcnt(0) lgkmcnt(0)
	v_fma_f32 v6, v9, v4, 0
.LBB9_137:
	s_or_b64 exec, exec, s[0:1]
	v_mbcnt_lo_u32_b32 v4, -1, 0
	v_mbcnt_hi_u32_b32 v8, -1, v4
	v_and_b32_e32 v4, 0x60, v8
	v_add_u32_e32 v11, 32, v4
	v_xor_b32_e32 v4, 16, v8
	v_cmp_lt_i32_e32 vcc, v4, v11
	v_cndmask_b32_e32 v4, v8, v4, vcc
	v_lshlrev_b32_e32 v4, 2, v4
	ds_bpermute_b32 v7, v4, v6
	v_xor_b32_e32 v5, 8, v8
	v_cmp_lt_i32_e32 vcc, v5, v11
	v_cndmask_b32_e32 v5, v8, v5, vcc
	v_lshlrev_b32_e32 v5, 2, v5
	s_waitcnt lgkmcnt(0)
	v_add_f32_e32 v7, v6, v7
	ds_bpermute_b32 v12, v5, v7
	v_xor_b32_e32 v6, 4, v8
	v_cmp_lt_i32_e32 vcc, v6, v11
	v_cndmask_b32_e32 v6, v8, v6, vcc
	v_lshlrev_b32_e32 v6, 2, v6
	s_waitcnt lgkmcnt(0)
	v_add_f32_e32 v12, v7, v12
	;; [unrolled: 7-line block ×4, first 2 shown]
	ds_bpermute_b32 v12, v8, v11
	v_cmp_eq_u32_e64 s[72:73], 1, v0
	s_and_saveexec_b64 s[0:1], s[72:73]
	s_cbranch_execz .LBB9_139
; %bb.138:
	v_mov_b32_e32 v13, 0
	ds_read_b32 v13, v13 offset:260
	s_waitcnt lgkmcnt(1)
	v_add_f32_e32 v11, v11, v12
	s_waitcnt vmcnt(0)
	v_sub_f32_e32 v9, v9, v11
	s_waitcnt lgkmcnt(0)
	v_div_scale_f32 v11, s[2:3], v13, v13, v9
	v_div_scale_f32 v12, vcc, v9, v13, v9
	v_rcp_f32_e32 v14, v11
	v_fma_f32 v15, -v11, v14, 1.0
	v_fmac_f32_e32 v14, v15, v14
	v_mul_f32_e32 v15, v12, v14
	v_fma_f32 v16, -v11, v15, v12
	v_fmac_f32_e32 v15, v16, v14
	v_fma_f32 v11, -v11, v15, v12
	v_div_fmas_f32 v11, v11, v14, v15
	v_div_fixup_f32 v9, v11, v13, v9
.LBB9_139:
	s_or_b64 exec, exec, s[0:1]
	v_mov_b32_e32 v11, 0
	v_cmp_gt_u32_e64 s[2:3], 2, v0
	s_mov_b64 s[0:1], exec
	v_writelane_b32 v17, s2, 4
	v_writelane_b32 v17, s3, 5
	s_and_b64 s[2:3], s[0:1], s[2:3]
	s_mov_b64 exec, s[2:3]
	s_cbranch_execz .LBB9_141
; %bb.140:
	ds_read_b32 v11, v3 offset:512
	s_waitcnt vmcnt(0) lgkmcnt(0)
	v_fma_f32 v11, v9, v11, 0
.LBB9_141:
	s_or_b64 exec, exec, s[0:1]
	s_waitcnt lgkmcnt(0)
	ds_bpermute_b32 v12, v4, v11
	v_cmp_eq_u32_e64 s[74:75], 2, v0
	s_waitcnt lgkmcnt(0)
	v_add_f32_e32 v11, v11, v12
	ds_bpermute_b32 v12, v5, v11
	s_waitcnt lgkmcnt(0)
	v_add_f32_e32 v11, v11, v12
	ds_bpermute_b32 v12, v6, v11
	s_waitcnt lgkmcnt(0)
	v_add_f32_e32 v11, v11, v12
	ds_bpermute_b32 v12, v7, v11
	s_waitcnt lgkmcnt(0)
	v_add_f32_e32 v11, v11, v12
	ds_bpermute_b32 v12, v8, v11
	s_and_saveexec_b64 s[0:1], s[74:75]
	s_cbranch_execz .LBB9_143
; %bb.142:
	v_mov_b32_e32 v13, 0
	ds_read_b32 v13, v13 offset:520
	s_waitcnt lgkmcnt(1)
	v_add_f32_e32 v11, v11, v12
	s_waitcnt vmcnt(0)
	v_sub_f32_e32 v9, v9, v11
	s_waitcnt lgkmcnt(0)
	v_div_scale_f32 v11, s[2:3], v13, v13, v9
	v_div_scale_f32 v12, vcc, v9, v13, v9
	v_rcp_f32_e32 v14, v11
	v_fma_f32 v15, -v11, v14, 1.0
	v_fmac_f32_e32 v14, v15, v14
	v_mul_f32_e32 v15, v12, v14
	v_fma_f32 v16, -v11, v15, v12
	v_fmac_f32_e32 v15, v16, v14
	v_fma_f32 v11, -v11, v15, v12
	v_div_fmas_f32 v11, v11, v14, v15
	v_div_fixup_f32 v9, v11, v13, v9
.LBB9_143:
	s_or_b64 exec, exec, s[0:1]
	v_mov_b32_e32 v11, 0
	v_cmp_gt_u32_e64 s[2:3], 3, v0
	s_mov_b64 s[0:1], exec
	v_writelane_b32 v17, s2, 6
	v_writelane_b32 v17, s3, 7
	s_and_b64 s[2:3], s[0:1], s[2:3]
	s_mov_b64 exec, s[2:3]
	s_cbranch_execz .LBB9_145
; %bb.144:
	ds_read_b32 v11, v3 offset:768
	s_waitcnt vmcnt(0) lgkmcnt(0)
	v_fma_f32 v11, v9, v11, 0
.LBB9_145:
	s_or_b64 exec, exec, s[0:1]
	s_waitcnt lgkmcnt(0)
	ds_bpermute_b32 v12, v4, v11
	v_cmp_eq_u32_e64 s[76:77], 3, v0
	s_waitcnt lgkmcnt(0)
	v_add_f32_e32 v11, v11, v12
	ds_bpermute_b32 v12, v5, v11
	s_waitcnt lgkmcnt(0)
	v_add_f32_e32 v11, v11, v12
	ds_bpermute_b32 v12, v6, v11
	s_waitcnt lgkmcnt(0)
	v_add_f32_e32 v11, v11, v12
	ds_bpermute_b32 v12, v7, v11
	s_waitcnt lgkmcnt(0)
	v_add_f32_e32 v11, v11, v12
	ds_bpermute_b32 v12, v8, v11
	;; [unrolled: 52-line block ×18, first 2 shown]
	s_and_saveexec_b64 s[18:19], s[16:17]
	s_cbranch_execz .LBB9_211
; %bb.210:
	v_mov_b32_e32 v13, 0
	ds_read_b32 v13, v13 offset:4940
	s_waitcnt lgkmcnt(1)
	v_add_f32_e32 v11, v11, v12
	s_waitcnt vmcnt(0)
	v_sub_f32_e32 v9, v9, v11
	s_waitcnt lgkmcnt(0)
	v_div_scale_f32 v11, s[20:21], v13, v13, v9
	v_div_scale_f32 v12, vcc, v9, v13, v9
	v_rcp_f32_e32 v14, v11
	v_fma_f32 v15, -v11, v14, 1.0
	v_fmac_f32_e32 v14, v15, v14
	v_mul_f32_e32 v15, v12, v14
	v_fma_f32 v16, -v11, v15, v12
	v_fmac_f32_e32 v15, v16, v14
	v_fma_f32 v11, -v11, v15, v12
	v_div_fmas_f32 v11, v11, v14, v15
	v_div_fixup_f32 v9, v11, v13, v9
.LBB9_211:
	s_or_b64 exec, exec, s[18:19]
	v_cmp_gt_u32_e64 s[50:51], 20, v0
	v_mov_b32_e32 v11, 0
	s_and_saveexec_b64 s[18:19], s[50:51]
	s_cbranch_execz .LBB9_213
; %bb.212:
	ds_read_b32 v11, v3 offset:5120
	s_waitcnt vmcnt(0) lgkmcnt(0)
	v_fma_f32 v11, v9, v11, 0
.LBB9_213:
	s_or_b64 exec, exec, s[18:19]
	s_waitcnt lgkmcnt(0)
	ds_bpermute_b32 v12, v4, v11
	v_cmp_eq_u32_e64 s[18:19], 20, v0
	s_waitcnt lgkmcnt(0)
	v_add_f32_e32 v11, v11, v12
	ds_bpermute_b32 v12, v5, v11
	s_waitcnt lgkmcnt(0)
	v_add_f32_e32 v11, v11, v12
	ds_bpermute_b32 v12, v6, v11
	s_waitcnt lgkmcnt(0)
	v_add_f32_e32 v11, v11, v12
	ds_bpermute_b32 v12, v7, v11
	s_waitcnt lgkmcnt(0)
	v_add_f32_e32 v11, v11, v12
	ds_bpermute_b32 v12, v8, v11
	s_and_saveexec_b64 s[20:21], s[18:19]
	s_cbranch_execz .LBB9_215
; %bb.214:
	v_mov_b32_e32 v13, 0
	ds_read_b32 v13, v13 offset:5200
	s_waitcnt lgkmcnt(1)
	v_add_f32_e32 v11, v11, v12
	s_waitcnt vmcnt(0)
	v_sub_f32_e32 v9, v9, v11
	s_waitcnt lgkmcnt(0)
	v_div_scale_f32 v11, s[22:23], v13, v13, v9
	v_div_scale_f32 v12, vcc, v9, v13, v9
	v_rcp_f32_e32 v14, v11
	v_fma_f32 v15, -v11, v14, 1.0
	v_fmac_f32_e32 v14, v15, v14
	v_mul_f32_e32 v15, v12, v14
	v_fma_f32 v16, -v11, v15, v12
	v_fmac_f32_e32 v15, v16, v14
	v_fma_f32 v11, -v11, v15, v12
	v_div_fmas_f32 v11, v11, v14, v15
	v_div_fixup_f32 v9, v11, v13, v9
.LBB9_215:
	s_or_b64 exec, exec, s[20:21]
	v_cmp_gt_u32_e64 s[52:53], 21, v0
	v_mov_b32_e32 v11, 0
	s_and_saveexec_b64 s[20:21], s[52:53]
	s_cbranch_execz .LBB9_217
; %bb.216:
	ds_read_b32 v11, v3 offset:5376
	s_waitcnt vmcnt(0) lgkmcnt(0)
	v_fma_f32 v11, v9, v11, 0
.LBB9_217:
	s_or_b64 exec, exec, s[20:21]
	s_waitcnt lgkmcnt(0)
	ds_bpermute_b32 v12, v4, v11
	v_cmp_eq_u32_e64 s[20:21], 21, v0
	s_waitcnt lgkmcnt(0)
	v_add_f32_e32 v11, v11, v12
	ds_bpermute_b32 v12, v5, v11
	s_waitcnt lgkmcnt(0)
	v_add_f32_e32 v11, v11, v12
	ds_bpermute_b32 v12, v6, v11
	s_waitcnt lgkmcnt(0)
	v_add_f32_e32 v11, v11, v12
	ds_bpermute_b32 v12, v7, v11
	s_waitcnt lgkmcnt(0)
	v_add_f32_e32 v11, v11, v12
	ds_bpermute_b32 v12, v8, v11
	;; [unrolled: 48-line block ×11, first 2 shown]
	s_and_saveexec_b64 s[42:43], s[40:41]
	s_cbranch_execz .LBB9_255
; %bb.254:
	v_mov_b32_e32 v13, 0
	ds_read_b32 v13, v13 offset:7800
	s_waitcnt lgkmcnt(1)
	v_add_f32_e32 v11, v11, v12
	s_waitcnt vmcnt(0)
	v_sub_f32_e32 v9, v9, v11
	s_waitcnt lgkmcnt(0)
	v_div_scale_f32 v11, vcc, v13, v13, v9
	v_div_scale_f32 v12, vcc, v9, v13, v9
	v_rcp_f32_e32 v14, v11
	v_fma_f32 v15, -v11, v14, 1.0
	v_fmac_f32_e32 v14, v15, v14
	v_mul_f32_e32 v15, v12, v14
	v_fma_f32 v16, -v11, v15, v12
	v_fmac_f32_e32 v15, v16, v14
	v_fma_f32 v11, -v11, v15, v12
	v_div_fmas_f32 v11, v11, v14, v15
	v_div_fixup_f32 v9, v11, v13, v9
.LBB9_255:
	s_or_b64 exec, exec, s[42:43]
	v_mov_b32_e32 v11, 0
	v_cmp_gt_u32_e32 vcc, 31, v0
	s_mov_b64 s[42:43], exec
	v_writelane_b32 v17, vcc_lo, 40
	v_writelane_b32 v17, vcc_hi, 41
	s_and_b64 vcc, s[42:43], vcc
	s_mov_b64 exec, vcc
	s_cbranch_execz .LBB9_257
; %bb.256:
	ds_read_b32 v11, v3 offset:7936
	s_waitcnt vmcnt(0) lgkmcnt(0)
	v_fma_f32 v11, v9, v11, 0
.LBB9_257:
	s_or_b64 exec, exec, s[42:43]
	s_waitcnt lgkmcnt(0)
	ds_bpermute_b32 v12, v4, v11
	v_cmp_eq_u32_e32 vcc, 31, v0
	s_waitcnt lgkmcnt(0)
	v_add_f32_e32 v11, v11, v12
	ds_bpermute_b32 v12, v5, v11
	s_waitcnt lgkmcnt(0)
	v_add_f32_e32 v11, v11, v12
	ds_bpermute_b32 v12, v6, v11
	s_waitcnt lgkmcnt(0)
	v_add_f32_e32 v11, v11, v12
	ds_bpermute_b32 v12, v7, v11
	s_waitcnt lgkmcnt(0)
	v_add_f32_e32 v11, v11, v12
	ds_bpermute_b32 v12, v8, v11
	s_mov_b64 s[42:43], exec
	v_writelane_b32 v17, vcc_lo, 42
	v_writelane_b32 v17, vcc_hi, 43
	s_and_b64 vcc, s[42:43], vcc
	s_mov_b64 exec, vcc
	s_cbranch_execz .LBB9_259
; %bb.258:
	v_mov_b32_e32 v13, 0
	ds_read_b32 v13, v13 offset:8060
	s_waitcnt lgkmcnt(1)
	v_add_f32_e32 v11, v11, v12
	s_waitcnt vmcnt(0)
	v_sub_f32_e32 v9, v9, v11
	s_waitcnt lgkmcnt(0)
	v_div_scale_f32 v11, vcc, v13, v13, v9
	v_div_scale_f32 v12, vcc, v9, v13, v9
	v_rcp_f32_e32 v14, v11
	v_fma_f32 v15, -v11, v14, 1.0
	v_fmac_f32_e32 v14, v15, v14
	v_mul_f32_e32 v15, v12, v14
	v_fma_f32 v16, -v11, v15, v12
	v_fmac_f32_e32 v15, v16, v14
	v_fma_f32 v11, -v11, v15, v12
	v_div_fmas_f32 v11, v11, v14, v15
	v_div_fixup_f32 v9, v11, v13, v9
.LBB9_259:
	s_or_b64 exec, exec, s[42:43]
	ds_read_b32 v11, v3 offset:8192
	s_waitcnt vmcnt(0) lgkmcnt(0)
	v_mul_f32_e32 v12, v9, v11
	ds_bpermute_b32 v12, v4, v12
	s_waitcnt lgkmcnt(0)
	v_fmac_f32_e32 v12, v9, v11
	ds_bpermute_b32 v11, v5, v12
	s_waitcnt lgkmcnt(0)
	v_add_f32_e32 v11, v12, v11
	ds_bpermute_b32 v12, v6, v11
	s_waitcnt lgkmcnt(0)
	v_add_f32_e32 v11, v11, v12
	;; [unrolled: 3-line block ×3, first 2 shown]
	ds_bpermute_b32 v12, v8, v11
	s_and_saveexec_b64 s[42:43], s[6:7]
	s_cbranch_execz .LBB9_261
; %bb.260:
	v_mov_b32_e32 v13, 0
	ds_read_b32 v13, v13 offset:8320
	s_waitcnt lgkmcnt(1)
	v_add_f32_e32 v11, v11, v12
	v_sub_f32_e32 v10, v10, v11
	s_waitcnt lgkmcnt(0)
	v_div_scale_f32 v11, vcc, v13, v13, v10
	v_div_scale_f32 v12, vcc, v10, v13, v10
	v_rcp_f32_e32 v14, v11
	v_fma_f32 v15, -v11, v14, 1.0
	v_fmac_f32_e32 v14, v15, v14
	v_mul_f32_e32 v15, v12, v14
	v_fma_f32 v16, -v11, v15, v12
	v_fmac_f32_e32 v15, v16, v14
	v_fma_f32 v11, -v11, v15, v12
	v_div_fmas_f32 v11, v11, v14, v15
	v_div_fixup_f32 v10, v11, v13, v10
.LBB9_261:
	s_or_b64 exec, exec, s[42:43]
	ds_read_b32 v11, v3 offset:8448
	s_waitcnt lgkmcnt(0)
	v_mul_f32_e32 v11, v9, v11
	s_and_saveexec_b64 s[42:43], s[6:7]
	s_cbranch_execz .LBB9_263
; %bb.262:
	ds_read_b32 v12, v3 offset:8576
	s_waitcnt lgkmcnt(0)
	v_fmac_f32_e32 v11, v10, v12
.LBB9_263:
	s_or_b64 exec, exec, s[42:43]
	ds_bpermute_b32 v12, v4, v11
	s_waitcnt lgkmcnt(0)
	v_add_f32_e32 v11, v11, v12
	ds_bpermute_b32 v12, v5, v11
	s_waitcnt lgkmcnt(0)
	v_add_f32_e32 v11, v11, v12
	ds_bpermute_b32 v12, v6, v11
	s_waitcnt lgkmcnt(0)
	v_add_f32_e32 v11, v11, v12
	ds_bpermute_b32 v12, v7, v11
	s_waitcnt lgkmcnt(0)
	v_add_f32_e32 v11, v11, v12
	ds_bpermute_b32 v12, v8, v11
	s_and_saveexec_b64 s[6:7], s[72:73]
	s_cbranch_execz .LBB9_265
; %bb.264:
	v_mov_b32_e32 v13, 0
	ds_read_b32 v13, v13 offset:8580
	s_waitcnt lgkmcnt(1)
	v_add_f32_e32 v11, v11, v12
	v_sub_f32_e32 v10, v10, v11
	s_waitcnt lgkmcnt(0)
	v_div_scale_f32 v11, s[42:43], v13, v13, v10
	v_div_scale_f32 v12, vcc, v10, v13, v10
	v_rcp_f32_e32 v14, v11
	v_fma_f32 v15, -v11, v14, 1.0
	v_fmac_f32_e32 v14, v15, v14
	v_mul_f32_e32 v15, v12, v14
	v_fma_f32 v16, -v11, v15, v12
	v_fmac_f32_e32 v15, v16, v14
	v_fma_f32 v11, -v11, v15, v12
	v_div_fmas_f32 v11, v11, v14, v15
	v_div_fixup_f32 v10, v11, v13, v10
.LBB9_265:
	s_or_b64 exec, exec, s[6:7]
	ds_read_b32 v11, v3 offset:8704
	s_waitcnt lgkmcnt(0)
	v_mul_f32_e32 v11, v9, v11
	s_mov_b64 s[6:7], exec
	v_readlane_b32 s42, v17, 4
	v_readlane_b32 s43, v17, 5
	s_and_b64 s[42:43], s[6:7], s[42:43]
	s_mov_b64 exec, s[42:43]
	s_cbranch_execz .LBB9_267
; %bb.266:
	ds_read_b32 v12, v3 offset:8832
	s_waitcnt lgkmcnt(0)
	v_fmac_f32_e32 v11, v10, v12
.LBB9_267:
	s_or_b64 exec, exec, s[6:7]
	ds_bpermute_b32 v12, v4, v11
	s_waitcnt lgkmcnt(0)
	v_add_f32_e32 v11, v11, v12
	ds_bpermute_b32 v12, v5, v11
	s_waitcnt lgkmcnt(0)
	v_add_f32_e32 v11, v11, v12
	ds_bpermute_b32 v12, v6, v11
	s_waitcnt lgkmcnt(0)
	v_add_f32_e32 v11, v11, v12
	ds_bpermute_b32 v12, v7, v11
	s_waitcnt lgkmcnt(0)
	v_add_f32_e32 v11, v11, v12
	ds_bpermute_b32 v12, v8, v11
	s_and_saveexec_b64 s[6:7], s[74:75]
	s_cbranch_execz .LBB9_269
; %bb.268:
	v_mov_b32_e32 v13, 0
	ds_read_b32 v13, v13 offset:8840
	s_waitcnt lgkmcnt(1)
	v_add_f32_e32 v11, v11, v12
	v_sub_f32_e32 v10, v10, v11
	s_waitcnt lgkmcnt(0)
	v_div_scale_f32 v11, s[42:43], v13, v13, v10
	v_div_scale_f32 v12, vcc, v10, v13, v10
	v_rcp_f32_e32 v14, v11
	v_fma_f32 v15, -v11, v14, 1.0
	v_fmac_f32_e32 v14, v15, v14
	v_mul_f32_e32 v15, v12, v14
	v_fma_f32 v16, -v11, v15, v12
	v_fmac_f32_e32 v15, v16, v14
	v_fma_f32 v11, -v11, v15, v12
	v_div_fmas_f32 v11, v11, v14, v15
	v_div_fixup_f32 v10, v11, v13, v10
.LBB9_269:
	s_or_b64 exec, exec, s[6:7]
	ds_read_b32 v11, v3 offset:8960
	s_waitcnt lgkmcnt(0)
	v_mul_f32_e32 v11, v9, v11
	s_mov_b64 s[6:7], exec
	v_readlane_b32 s42, v17, 6
	v_readlane_b32 s43, v17, 7
	s_and_b64 s[42:43], s[6:7], s[42:43]
	s_mov_b64 exec, s[42:43]
	;; [unrolled: 50-line block ×18, first 2 shown]
	s_cbranch_execz .LBB9_335
; %bb.334:
	ds_read_b32 v12, v3 offset:13184
	s_waitcnt lgkmcnt(0)
	v_fmac_f32_e32 v11, v10, v12
.LBB9_335:
	s_or_b64 exec, exec, s[0:1]
	ds_bpermute_b32 v12, v4, v11
	s_waitcnt lgkmcnt(0)
	v_add_f32_e32 v11, v11, v12
	ds_bpermute_b32 v12, v5, v11
	s_waitcnt lgkmcnt(0)
	v_add_f32_e32 v11, v11, v12
	ds_bpermute_b32 v12, v6, v11
	s_waitcnt lgkmcnt(0)
	v_add_f32_e32 v11, v11, v12
	ds_bpermute_b32 v12, v7, v11
	s_waitcnt lgkmcnt(0)
	v_add_f32_e32 v11, v11, v12
	ds_bpermute_b32 v12, v8, v11
	s_and_saveexec_b64 s[0:1], s[16:17]
	s_cbranch_execz .LBB9_337
; %bb.336:
	v_mov_b32_e32 v13, 0
	ds_read_b32 v13, v13 offset:13260
	s_waitcnt lgkmcnt(1)
	v_add_f32_e32 v11, v11, v12
	v_sub_f32_e32 v10, v10, v11
	s_waitcnt lgkmcnt(0)
	v_div_scale_f32 v11, s[2:3], v13, v13, v10
	v_div_scale_f32 v12, vcc, v10, v13, v10
	v_rcp_f32_e32 v14, v11
	v_fma_f32 v15, -v11, v14, 1.0
	v_fmac_f32_e32 v14, v15, v14
	v_mul_f32_e32 v15, v12, v14
	v_fma_f32 v16, -v11, v15, v12
	v_fmac_f32_e32 v15, v16, v14
	v_fma_f32 v11, -v11, v15, v12
	v_div_fmas_f32 v11, v11, v14, v15
	v_div_fixup_f32 v10, v11, v13, v10
.LBB9_337:
	s_or_b64 exec, exec, s[0:1]
	ds_read_b32 v11, v3 offset:13312
	s_waitcnt lgkmcnt(0)
	v_mul_f32_e32 v11, v9, v11
	s_and_saveexec_b64 s[0:1], s[50:51]
	s_cbranch_execz .LBB9_339
; %bb.338:
	ds_read_b32 v12, v3 offset:13440
	s_waitcnt lgkmcnt(0)
	v_fmac_f32_e32 v11, v10, v12
.LBB9_339:
	s_or_b64 exec, exec, s[0:1]
	ds_bpermute_b32 v12, v4, v11
	s_waitcnt lgkmcnt(0)
	v_add_f32_e32 v11, v11, v12
	ds_bpermute_b32 v12, v5, v11
	s_waitcnt lgkmcnt(0)
	v_add_f32_e32 v11, v11, v12
	ds_bpermute_b32 v12, v6, v11
	s_waitcnt lgkmcnt(0)
	v_add_f32_e32 v11, v11, v12
	ds_bpermute_b32 v12, v7, v11
	s_waitcnt lgkmcnt(0)
	v_add_f32_e32 v11, v11, v12
	ds_bpermute_b32 v12, v8, v11
	s_and_saveexec_b64 s[0:1], s[18:19]
	s_cbranch_execz .LBB9_341
; %bb.340:
	v_mov_b32_e32 v13, 0
	ds_read_b32 v13, v13 offset:13520
	s_waitcnt lgkmcnt(1)
	v_add_f32_e32 v11, v11, v12
	v_sub_f32_e32 v10, v10, v11
	s_waitcnt lgkmcnt(0)
	v_div_scale_f32 v11, s[2:3], v13, v13, v10
	v_div_scale_f32 v12, vcc, v10, v13, v10
	v_rcp_f32_e32 v14, v11
	v_fma_f32 v15, -v11, v14, 1.0
	v_fmac_f32_e32 v14, v15, v14
	v_mul_f32_e32 v15, v12, v14
	v_fma_f32 v16, -v11, v15, v12
	v_fmac_f32_e32 v15, v16, v14
	v_fma_f32 v11, -v11, v15, v12
	v_div_fmas_f32 v11, v11, v14, v15
	v_div_fixup_f32 v10, v11, v13, v10
.LBB9_341:
	s_or_b64 exec, exec, s[0:1]
	ds_read_b32 v11, v3 offset:13568
	s_waitcnt lgkmcnt(0)
	v_mul_f32_e32 v11, v9, v11
	s_and_saveexec_b64 s[0:1], s[52:53]
	s_cbranch_execz .LBB9_343
; %bb.342:
	ds_read_b32 v12, v3 offset:13696
	s_waitcnt lgkmcnt(0)
	v_fmac_f32_e32 v11, v10, v12
.LBB9_343:
	s_or_b64 exec, exec, s[0:1]
	ds_bpermute_b32 v12, v4, v11
	s_waitcnt lgkmcnt(0)
	v_add_f32_e32 v11, v11, v12
	ds_bpermute_b32 v12, v5, v11
	s_waitcnt lgkmcnt(0)
	v_add_f32_e32 v11, v11, v12
	ds_bpermute_b32 v12, v6, v11
	s_waitcnt lgkmcnt(0)
	v_add_f32_e32 v11, v11, v12
	ds_bpermute_b32 v12, v7, v11
	s_waitcnt lgkmcnt(0)
	v_add_f32_e32 v11, v11, v12
	ds_bpermute_b32 v12, v8, v11
	s_and_saveexec_b64 s[0:1], s[20:21]
	s_cbranch_execz .LBB9_345
; %bb.344:
	v_mov_b32_e32 v13, 0
	ds_read_b32 v13, v13 offset:13780
	s_waitcnt lgkmcnt(1)
	v_add_f32_e32 v11, v11, v12
	v_sub_f32_e32 v10, v10, v11
	s_waitcnt lgkmcnt(0)
	v_div_scale_f32 v11, s[2:3], v13, v13, v10
	v_div_scale_f32 v12, vcc, v10, v13, v10
	v_rcp_f32_e32 v14, v11
	v_fma_f32 v15, -v11, v14, 1.0
	v_fmac_f32_e32 v14, v15, v14
	v_mul_f32_e32 v15, v12, v14
	v_fma_f32 v16, -v11, v15, v12
	v_fmac_f32_e32 v15, v16, v14
	v_fma_f32 v11, -v11, v15, v12
	v_div_fmas_f32 v11, v11, v14, v15
	v_div_fixup_f32 v10, v11, v13, v10
.LBB9_345:
	s_or_b64 exec, exec, s[0:1]
	ds_read_b32 v11, v3 offset:13824
	s_waitcnt lgkmcnt(0)
	v_mul_f32_e32 v11, v9, v11
	s_and_saveexec_b64 s[0:1], s[54:55]
	s_cbranch_execz .LBB9_347
; %bb.346:
	ds_read_b32 v12, v3 offset:13952
	s_waitcnt lgkmcnt(0)
	v_fmac_f32_e32 v11, v10, v12
.LBB9_347:
	s_or_b64 exec, exec, s[0:1]
	ds_bpermute_b32 v12, v4, v11
	s_waitcnt lgkmcnt(0)
	v_add_f32_e32 v11, v11, v12
	ds_bpermute_b32 v12, v5, v11
	s_waitcnt lgkmcnt(0)
	v_add_f32_e32 v11, v11, v12
	ds_bpermute_b32 v12, v6, v11
	s_waitcnt lgkmcnt(0)
	v_add_f32_e32 v11, v11, v12
	ds_bpermute_b32 v12, v7, v11
	s_waitcnt lgkmcnt(0)
	v_add_f32_e32 v11, v11, v12
	ds_bpermute_b32 v12, v8, v11
	s_and_saveexec_b64 s[0:1], s[22:23]
	s_cbranch_execz .LBB9_349
; %bb.348:
	v_mov_b32_e32 v13, 0
	ds_read_b32 v13, v13 offset:14040
	s_waitcnt lgkmcnt(1)
	v_add_f32_e32 v11, v11, v12
	v_sub_f32_e32 v10, v10, v11
	s_waitcnt lgkmcnt(0)
	v_div_scale_f32 v11, s[2:3], v13, v13, v10
	v_div_scale_f32 v12, vcc, v10, v13, v10
	v_rcp_f32_e32 v14, v11
	v_fma_f32 v15, -v11, v14, 1.0
	v_fmac_f32_e32 v14, v15, v14
	v_mul_f32_e32 v15, v12, v14
	v_fma_f32 v16, -v11, v15, v12
	v_fmac_f32_e32 v15, v16, v14
	v_fma_f32 v11, -v11, v15, v12
	v_div_fmas_f32 v11, v11, v14, v15
	v_div_fixup_f32 v10, v11, v13, v10
.LBB9_349:
	s_or_b64 exec, exec, s[0:1]
	ds_read_b32 v11, v3 offset:14080
	s_waitcnt lgkmcnt(0)
	v_mul_f32_e32 v11, v9, v11
	s_and_saveexec_b64 s[0:1], s[56:57]
	s_cbranch_execz .LBB9_351
; %bb.350:
	ds_read_b32 v12, v3 offset:14208
	s_waitcnt lgkmcnt(0)
	v_fmac_f32_e32 v11, v10, v12
.LBB9_351:
	s_or_b64 exec, exec, s[0:1]
	ds_bpermute_b32 v12, v4, v11
	s_waitcnt lgkmcnt(0)
	v_add_f32_e32 v11, v11, v12
	ds_bpermute_b32 v12, v5, v11
	s_waitcnt lgkmcnt(0)
	v_add_f32_e32 v11, v11, v12
	ds_bpermute_b32 v12, v6, v11
	s_waitcnt lgkmcnt(0)
	v_add_f32_e32 v11, v11, v12
	ds_bpermute_b32 v12, v7, v11
	s_waitcnt lgkmcnt(0)
	v_add_f32_e32 v11, v11, v12
	ds_bpermute_b32 v12, v8, v11
	s_and_saveexec_b64 s[0:1], s[24:25]
	s_cbranch_execz .LBB9_353
; %bb.352:
	v_mov_b32_e32 v13, 0
	ds_read_b32 v13, v13 offset:14300
	s_waitcnt lgkmcnt(1)
	v_add_f32_e32 v11, v11, v12
	v_sub_f32_e32 v10, v10, v11
	s_waitcnt lgkmcnt(0)
	v_div_scale_f32 v11, s[2:3], v13, v13, v10
	v_div_scale_f32 v12, vcc, v10, v13, v10
	v_rcp_f32_e32 v14, v11
	v_fma_f32 v15, -v11, v14, 1.0
	v_fmac_f32_e32 v14, v15, v14
	v_mul_f32_e32 v15, v12, v14
	v_fma_f32 v16, -v11, v15, v12
	v_fmac_f32_e32 v15, v16, v14
	v_fma_f32 v11, -v11, v15, v12
	v_div_fmas_f32 v11, v11, v14, v15
	v_div_fixup_f32 v10, v11, v13, v10
.LBB9_353:
	s_or_b64 exec, exec, s[0:1]
	ds_read_b32 v11, v3 offset:14336
	s_waitcnt lgkmcnt(0)
	v_mul_f32_e32 v11, v9, v11
	s_and_saveexec_b64 s[0:1], s[58:59]
	s_cbranch_execz .LBB9_355
; %bb.354:
	ds_read_b32 v12, v3 offset:14464
	s_waitcnt lgkmcnt(0)
	v_fmac_f32_e32 v11, v10, v12
.LBB9_355:
	s_or_b64 exec, exec, s[0:1]
	ds_bpermute_b32 v12, v4, v11
	s_waitcnt lgkmcnt(0)
	v_add_f32_e32 v11, v11, v12
	ds_bpermute_b32 v12, v5, v11
	s_waitcnt lgkmcnt(0)
	v_add_f32_e32 v11, v11, v12
	ds_bpermute_b32 v12, v6, v11
	s_waitcnt lgkmcnt(0)
	v_add_f32_e32 v11, v11, v12
	ds_bpermute_b32 v12, v7, v11
	s_waitcnt lgkmcnt(0)
	v_add_f32_e32 v11, v11, v12
	ds_bpermute_b32 v12, v8, v11
	s_and_saveexec_b64 s[0:1], s[26:27]
	s_cbranch_execz .LBB9_357
; %bb.356:
	v_mov_b32_e32 v13, 0
	ds_read_b32 v13, v13 offset:14560
	s_waitcnt lgkmcnt(1)
	v_add_f32_e32 v11, v11, v12
	v_sub_f32_e32 v10, v10, v11
	s_waitcnt lgkmcnt(0)
	v_div_scale_f32 v11, s[2:3], v13, v13, v10
	v_div_scale_f32 v12, vcc, v10, v13, v10
	v_rcp_f32_e32 v14, v11
	v_fma_f32 v15, -v11, v14, 1.0
	v_fmac_f32_e32 v14, v15, v14
	v_mul_f32_e32 v15, v12, v14
	v_fma_f32 v16, -v11, v15, v12
	v_fmac_f32_e32 v15, v16, v14
	v_fma_f32 v11, -v11, v15, v12
	v_div_fmas_f32 v11, v11, v14, v15
	v_div_fixup_f32 v10, v11, v13, v10
.LBB9_357:
	s_or_b64 exec, exec, s[0:1]
	ds_read_b32 v11, v3 offset:14592
	s_waitcnt lgkmcnt(0)
	v_mul_f32_e32 v11, v9, v11
	s_and_saveexec_b64 s[0:1], s[60:61]
	s_cbranch_execz .LBB9_359
; %bb.358:
	ds_read_b32 v12, v3 offset:14720
	s_waitcnt lgkmcnt(0)
	v_fmac_f32_e32 v11, v10, v12
.LBB9_359:
	s_or_b64 exec, exec, s[0:1]
	ds_bpermute_b32 v12, v4, v11
	s_waitcnt lgkmcnt(0)
	v_add_f32_e32 v11, v11, v12
	ds_bpermute_b32 v12, v5, v11
	s_waitcnt lgkmcnt(0)
	v_add_f32_e32 v11, v11, v12
	ds_bpermute_b32 v12, v6, v11
	s_waitcnt lgkmcnt(0)
	v_add_f32_e32 v11, v11, v12
	ds_bpermute_b32 v12, v7, v11
	s_waitcnt lgkmcnt(0)
	v_add_f32_e32 v11, v11, v12
	ds_bpermute_b32 v12, v8, v11
	s_and_saveexec_b64 s[0:1], s[28:29]
	s_cbranch_execz .LBB9_361
; %bb.360:
	v_mov_b32_e32 v13, 0
	ds_read_b32 v13, v13 offset:14820
	s_waitcnt lgkmcnt(1)
	v_add_f32_e32 v11, v11, v12
	v_sub_f32_e32 v10, v10, v11
	s_waitcnt lgkmcnt(0)
	v_div_scale_f32 v11, s[2:3], v13, v13, v10
	v_div_scale_f32 v12, vcc, v10, v13, v10
	v_rcp_f32_e32 v14, v11
	v_fma_f32 v15, -v11, v14, 1.0
	v_fmac_f32_e32 v14, v15, v14
	v_mul_f32_e32 v15, v12, v14
	v_fma_f32 v16, -v11, v15, v12
	v_fmac_f32_e32 v15, v16, v14
	v_fma_f32 v11, -v11, v15, v12
	v_div_fmas_f32 v11, v11, v14, v15
	v_div_fixup_f32 v10, v11, v13, v10
.LBB9_361:
	s_or_b64 exec, exec, s[0:1]
	ds_read_b32 v11, v3 offset:14848
	s_waitcnt lgkmcnt(0)
	v_mul_f32_e32 v11, v9, v11
	s_and_saveexec_b64 s[0:1], s[62:63]
	s_cbranch_execz .LBB9_363
; %bb.362:
	ds_read_b32 v12, v3 offset:14976
	s_waitcnt lgkmcnt(0)
	v_fmac_f32_e32 v11, v10, v12
.LBB9_363:
	s_or_b64 exec, exec, s[0:1]
	ds_bpermute_b32 v12, v4, v11
	s_waitcnt lgkmcnt(0)
	v_add_f32_e32 v11, v11, v12
	ds_bpermute_b32 v12, v5, v11
	s_waitcnt lgkmcnt(0)
	v_add_f32_e32 v11, v11, v12
	ds_bpermute_b32 v12, v6, v11
	s_waitcnt lgkmcnt(0)
	v_add_f32_e32 v11, v11, v12
	ds_bpermute_b32 v12, v7, v11
	s_waitcnt lgkmcnt(0)
	v_add_f32_e32 v11, v11, v12
	ds_bpermute_b32 v12, v8, v11
	s_and_saveexec_b64 s[0:1], s[30:31]
	s_cbranch_execz .LBB9_365
; %bb.364:
	v_mov_b32_e32 v13, 0
	ds_read_b32 v13, v13 offset:15080
	s_waitcnt lgkmcnt(1)
	v_add_f32_e32 v11, v11, v12
	v_sub_f32_e32 v10, v10, v11
	s_waitcnt lgkmcnt(0)
	v_div_scale_f32 v11, s[2:3], v13, v13, v10
	v_div_scale_f32 v12, vcc, v10, v13, v10
	v_rcp_f32_e32 v14, v11
	v_fma_f32 v15, -v11, v14, 1.0
	v_fmac_f32_e32 v14, v15, v14
	v_mul_f32_e32 v15, v12, v14
	v_fma_f32 v16, -v11, v15, v12
	v_fmac_f32_e32 v15, v16, v14
	v_fma_f32 v11, -v11, v15, v12
	v_div_fmas_f32 v11, v11, v14, v15
	v_div_fixup_f32 v10, v11, v13, v10
.LBB9_365:
	s_or_b64 exec, exec, s[0:1]
	ds_read_b32 v11, v3 offset:15104
	s_waitcnt lgkmcnt(0)
	v_mul_f32_e32 v11, v9, v11
	s_and_saveexec_b64 s[0:1], s[64:65]
	s_cbranch_execz .LBB9_367
; %bb.366:
	ds_read_b32 v12, v3 offset:15232
	s_waitcnt lgkmcnt(0)
	v_fmac_f32_e32 v11, v10, v12
.LBB9_367:
	s_or_b64 exec, exec, s[0:1]
	ds_bpermute_b32 v12, v4, v11
	s_waitcnt lgkmcnt(0)
	v_add_f32_e32 v11, v11, v12
	ds_bpermute_b32 v12, v5, v11
	s_waitcnt lgkmcnt(0)
	v_add_f32_e32 v11, v11, v12
	ds_bpermute_b32 v12, v6, v11
	s_waitcnt lgkmcnt(0)
	v_add_f32_e32 v11, v11, v12
	ds_bpermute_b32 v12, v7, v11
	s_waitcnt lgkmcnt(0)
	v_add_f32_e32 v11, v11, v12
	ds_bpermute_b32 v12, v8, v11
	s_and_saveexec_b64 s[0:1], s[34:35]
	s_cbranch_execz .LBB9_369
; %bb.368:
	v_mov_b32_e32 v13, 0
	ds_read_b32 v13, v13 offset:15340
	s_waitcnt lgkmcnt(1)
	v_add_f32_e32 v11, v11, v12
	v_sub_f32_e32 v10, v10, v11
	s_waitcnt lgkmcnt(0)
	v_div_scale_f32 v11, s[2:3], v13, v13, v10
	v_div_scale_f32 v12, vcc, v10, v13, v10
	v_rcp_f32_e32 v14, v11
	v_fma_f32 v15, -v11, v14, 1.0
	v_fmac_f32_e32 v14, v15, v14
	v_mul_f32_e32 v15, v12, v14
	v_fma_f32 v16, -v11, v15, v12
	v_fmac_f32_e32 v15, v16, v14
	v_fma_f32 v11, -v11, v15, v12
	v_div_fmas_f32 v11, v11, v14, v15
	v_div_fixup_f32 v10, v11, v13, v10
.LBB9_369:
	s_or_b64 exec, exec, s[0:1]
	ds_read_b32 v11, v3 offset:15360
	s_waitcnt lgkmcnt(0)
	v_mul_f32_e32 v11, v9, v11
	s_and_saveexec_b64 s[0:1], s[66:67]
	s_cbranch_execz .LBB9_371
; %bb.370:
	ds_read_b32 v12, v3 offset:15488
	s_waitcnt lgkmcnt(0)
	v_fmac_f32_e32 v11, v10, v12
.LBB9_371:
	s_or_b64 exec, exec, s[0:1]
	ds_bpermute_b32 v12, v4, v11
	s_waitcnt lgkmcnt(0)
	v_add_f32_e32 v11, v11, v12
	ds_bpermute_b32 v12, v5, v11
	s_waitcnt lgkmcnt(0)
	v_add_f32_e32 v11, v11, v12
	ds_bpermute_b32 v12, v6, v11
	s_waitcnt lgkmcnt(0)
	v_add_f32_e32 v11, v11, v12
	ds_bpermute_b32 v12, v7, v11
	s_waitcnt lgkmcnt(0)
	v_add_f32_e32 v11, v11, v12
	ds_bpermute_b32 v12, v8, v11
	s_and_saveexec_b64 s[0:1], s[36:37]
	s_cbranch_execz .LBB9_373
; %bb.372:
	v_mov_b32_e32 v13, 0
	ds_read_b32 v13, v13 offset:15600
	s_waitcnt lgkmcnt(1)
	v_add_f32_e32 v11, v11, v12
	v_sub_f32_e32 v10, v10, v11
	s_waitcnt lgkmcnt(0)
	v_div_scale_f32 v11, s[2:3], v13, v13, v10
	v_div_scale_f32 v12, vcc, v10, v13, v10
	v_rcp_f32_e32 v14, v11
	v_fma_f32 v15, -v11, v14, 1.0
	v_fmac_f32_e32 v14, v15, v14
	v_mul_f32_e32 v15, v12, v14
	v_fma_f32 v16, -v11, v15, v12
	v_fmac_f32_e32 v15, v16, v14
	v_fma_f32 v11, -v11, v15, v12
	v_div_fmas_f32 v11, v11, v14, v15
	v_div_fixup_f32 v10, v11, v13, v10
.LBB9_373:
	s_or_b64 exec, exec, s[0:1]
	ds_read_b32 v11, v3 offset:15616
	s_waitcnt lgkmcnt(0)
	v_mul_f32_e32 v11, v9, v11
	s_and_saveexec_b64 s[0:1], s[68:69]
	s_cbranch_execz .LBB9_375
; %bb.374:
	ds_read_b32 v12, v3 offset:15744
	s_waitcnt lgkmcnt(0)
	v_fmac_f32_e32 v11, v10, v12
.LBB9_375:
	s_or_b64 exec, exec, s[0:1]
	ds_bpermute_b32 v12, v4, v11
	s_waitcnt lgkmcnt(0)
	v_add_f32_e32 v11, v11, v12
	ds_bpermute_b32 v12, v5, v11
	s_waitcnt lgkmcnt(0)
	v_add_f32_e32 v11, v11, v12
	ds_bpermute_b32 v12, v6, v11
	s_waitcnt lgkmcnt(0)
	v_add_f32_e32 v11, v11, v12
	ds_bpermute_b32 v12, v7, v11
	s_waitcnt lgkmcnt(0)
	v_add_f32_e32 v11, v11, v12
	ds_bpermute_b32 v12, v8, v11
	s_and_saveexec_b64 s[0:1], s[38:39]
	s_cbranch_execz .LBB9_377
; %bb.376:
	v_mov_b32_e32 v13, 0
	ds_read_b32 v13, v13 offset:15860
	s_waitcnt lgkmcnt(1)
	v_add_f32_e32 v11, v11, v12
	v_sub_f32_e32 v10, v10, v11
	s_waitcnt lgkmcnt(0)
	v_div_scale_f32 v11, s[2:3], v13, v13, v10
	v_div_scale_f32 v12, vcc, v10, v13, v10
	v_rcp_f32_e32 v14, v11
	v_fma_f32 v15, -v11, v14, 1.0
	v_fmac_f32_e32 v14, v15, v14
	v_mul_f32_e32 v15, v12, v14
	v_fma_f32 v16, -v11, v15, v12
	v_fmac_f32_e32 v15, v16, v14
	v_fma_f32 v11, -v11, v15, v12
	v_div_fmas_f32 v11, v11, v14, v15
	v_div_fixup_f32 v10, v11, v13, v10
.LBB9_377:
	s_or_b64 exec, exec, s[0:1]
	ds_read_b32 v11, v3 offset:15872
	s_waitcnt lgkmcnt(0)
	v_mul_f32_e32 v11, v9, v11
	s_and_saveexec_b64 s[0:1], s[70:71]
	s_cbranch_execz .LBB9_379
; %bb.378:
	ds_read_b32 v12, v3 offset:16000
	s_waitcnt lgkmcnt(0)
	v_fmac_f32_e32 v11, v10, v12
.LBB9_379:
	s_or_b64 exec, exec, s[0:1]
	ds_bpermute_b32 v12, v4, v11
	s_waitcnt lgkmcnt(0)
	v_add_f32_e32 v11, v11, v12
	ds_bpermute_b32 v12, v5, v11
	s_waitcnt lgkmcnt(0)
	v_add_f32_e32 v11, v11, v12
	;; [unrolled: 3-line block ×4, first 2 shown]
	ds_bpermute_b32 v12, v8, v11
	s_and_saveexec_b64 s[0:1], s[40:41]
	s_cbranch_execz .LBB9_381
; %bb.380:
	v_mov_b32_e32 v13, 0
	ds_read_b32 v13, v13 offset:16120
	s_waitcnt lgkmcnt(1)
	v_add_f32_e32 v11, v11, v12
	v_sub_f32_e32 v10, v10, v11
	s_waitcnt lgkmcnt(0)
	v_div_scale_f32 v11, s[2:3], v13, v13, v10
	v_div_scale_f32 v12, vcc, v10, v13, v10
	v_rcp_f32_e32 v14, v11
	v_fma_f32 v15, -v11, v14, 1.0
	v_fmac_f32_e32 v14, v15, v14
	v_mul_f32_e32 v15, v12, v14
	v_fma_f32 v16, -v11, v15, v12
	v_fmac_f32_e32 v15, v16, v14
	v_fma_f32 v11, -v11, v15, v12
	v_div_fmas_f32 v11, v11, v14, v15
	v_div_fixup_f32 v10, v11, v13, v10
.LBB9_381:
	s_or_b64 exec, exec, s[0:1]
	ds_read_b32 v11, v3 offset:16128
	s_load_dwordx2 s[0:1], s[4:5], 0x10
	s_waitcnt lgkmcnt(0)
	v_mul_f32_e32 v11, v9, v11
	s_mov_b64 s[2:3], exec
	v_readlane_b32 s4, v17, 40
	v_readlane_b32 s5, v17, 41
	s_and_b64 s[4:5], s[2:3], s[4:5]
	s_mov_b64 exec, s[4:5]
	s_cbranch_execz .LBB9_383
; %bb.382:
	ds_read_b32 v3, v3 offset:16256
	s_waitcnt lgkmcnt(0)
	v_fmac_f32_e32 v11, v10, v3
.LBB9_383:
	s_or_b64 exec, exec, s[2:3]
	ds_bpermute_b32 v3, v4, v11
	s_waitcnt lgkmcnt(0)
	v_add_f32_e32 v3, v11, v3
	ds_bpermute_b32 v4, v5, v3
	s_waitcnt lgkmcnt(0)
	v_add_f32_e32 v3, v3, v4
	;; [unrolled: 3-line block ×4, first 2 shown]
	ds_bpermute_b32 v4, v8, v3
	s_mov_b64 s[2:3], exec
	v_readlane_b32 s4, v17, 42
	v_readlane_b32 s5, v17, 43
	s_and_b64 s[4:5], s[2:3], s[4:5]
	s_mov_b64 exec, s[4:5]
	s_cbranch_execz .LBB9_385
; %bb.384:
	v_mov_b32_e32 v5, 0
	ds_read_b32 v5, v5 offset:16380
	s_waitcnt lgkmcnt(1)
	v_add_f32_e32 v3, v3, v4
	v_sub_f32_e32 v3, v10, v3
	s_waitcnt lgkmcnt(0)
	v_div_scale_f32 v4, s[4:5], v5, v5, v3
	v_div_scale_f32 v6, vcc, v3, v5, v3
	v_rcp_f32_e32 v7, v4
	v_fma_f32 v8, -v4, v7, 1.0
	v_fmac_f32_e32 v7, v8, v7
	v_mul_f32_e32 v8, v6, v7
	v_fma_f32 v10, -v4, v8, v6
	v_fmac_f32_e32 v8, v10, v7
	v_fma_f32 v4, -v4, v8, v6
	v_div_fmas_f32 v4, v4, v7, v8
	v_div_fixup_f32 v10, v4, v5, v3
.LBB9_385:
	s_or_b64 exec, exec, s[2:3]
	s_mul_i32 s2, s45, s48
	s_mul_hi_u32 s3, s44, s48
	s_add_i32 s3, s3, s2
	s_mul_i32 s2, s44, s48
	s_mul_i32 s4, s47, s33
	s_mul_hi_u32 s5, s46, s33
	s_add_i32 s5, s5, s4
	s_lshl_b64 s[2:3], s[2:3], 2
	s_mul_i32 s4, s46, s33
	s_add_u32 s2, s0, s2
	s_addc_u32 s3, s1, s3
	s_lshl_b64 s[0:1], s[4:5], 2
	s_add_u32 s0, s2, s0
	s_addc_u32 s1, s3, s1
	s_mov_b64 s[2:3], exec
	v_readlane_b32 s4, v17, 0
	v_readlane_b32 s5, v17, 1
	s_and_b64 s[4:5], s[2:3], s[4:5]
	s_mov_b64 exec, s[4:5]
	s_cbranch_execz .LBB9_387
; %bb.386:
	v_readlane_b32 s4, v17, 2
	v_readlane_b32 s5, v17, 3
	v_lshl_or_b32 v0, v0, 3, v1
	v_cndmask_b32_e64 v3, v10, v9, s[4:5]
	global_store_dword v0, v3, s[0:1]
.LBB9_387:
	s_or_b64 exec, exec, s[2:3]
	v_readlane_b32 s2, v17, 2
	v_readlane_b32 s3, v17, 3
	s_and_b64 exec, exec, s[2:3]
	s_cbranch_execz .LBB9_389
; %bb.388:
	v_lshl_or_b32 v0, v2, 3, v1
	global_store_dword v0, v10, s[0:1]
.LBB9_389:
	s_endpgm
	.section	.rodata,"a",@progbits
	.p2align	6, 0x0
	.amdhsa_kernel _ZL18solve_tri_f32_fastILi64ELi2EEvPKfS1_Pf15HIP_vector_typeIjLj3EEmmmmmmii
		.amdhsa_group_segment_fixed_size 16384
		.amdhsa_private_segment_fixed_size 0
		.amdhsa_kernarg_size 352
		.amdhsa_user_sgpr_count 6
		.amdhsa_user_sgpr_private_segment_buffer 1
		.amdhsa_user_sgpr_dispatch_ptr 0
		.amdhsa_user_sgpr_queue_ptr 0
		.amdhsa_user_sgpr_kernarg_segment_ptr 1
		.amdhsa_user_sgpr_dispatch_id 0
		.amdhsa_user_sgpr_flat_scratch_init 0
		.amdhsa_user_sgpr_private_segment_size 0
		.amdhsa_uses_dynamic_stack 0
		.amdhsa_system_sgpr_private_segment_wavefront_offset 0
		.amdhsa_system_sgpr_workgroup_id_x 1
		.amdhsa_system_sgpr_workgroup_id_y 0
		.amdhsa_system_sgpr_workgroup_id_z 0
		.amdhsa_system_sgpr_workgroup_info 0
		.amdhsa_system_vgpr_workitem_id 1
		.amdhsa_next_free_vgpr 29
		.amdhsa_next_free_sgpr 96
		.amdhsa_reserve_vcc 1
		.amdhsa_reserve_flat_scratch 0
		.amdhsa_float_round_mode_32 0
		.amdhsa_float_round_mode_16_64 0
		.amdhsa_float_denorm_mode_32 3
		.amdhsa_float_denorm_mode_16_64 3
		.amdhsa_dx10_clamp 1
		.amdhsa_ieee_mode 1
		.amdhsa_fp16_overflow 0
		.amdhsa_exception_fp_ieee_invalid_op 0
		.amdhsa_exception_fp_denorm_src 0
		.amdhsa_exception_fp_ieee_div_zero 0
		.amdhsa_exception_fp_ieee_overflow 0
		.amdhsa_exception_fp_ieee_underflow 0
		.amdhsa_exception_fp_ieee_inexact 0
		.amdhsa_exception_int_div_zero 0
	.end_amdhsa_kernel
	.section	.text._ZL18solve_tri_f32_fastILi64ELi2EEvPKfS1_Pf15HIP_vector_typeIjLj3EEmmmmmmii,"axG",@progbits,_ZL18solve_tri_f32_fastILi64ELi2EEvPKfS1_Pf15HIP_vector_typeIjLj3EEmmmmmmii,comdat
.Lfunc_end9:
	.size	_ZL18solve_tri_f32_fastILi64ELi2EEvPKfS1_Pf15HIP_vector_typeIjLj3EEmmmmmmii, .Lfunc_end9-_ZL18solve_tri_f32_fastILi64ELi2EEvPKfS1_Pf15HIP_vector_typeIjLj3EEmmmmmmii
                                        ; -- End function
	.set _ZL18solve_tri_f32_fastILi64ELi2EEvPKfS1_Pf15HIP_vector_typeIjLj3EEmmmmmmii.num_vgpr, 18
	.set _ZL18solve_tri_f32_fastILi64ELi2EEvPKfS1_Pf15HIP_vector_typeIjLj3EEmmmmmmii.num_agpr, 0
	.set _ZL18solve_tri_f32_fastILi64ELi2EEvPKfS1_Pf15HIP_vector_typeIjLj3EEmmmmmmii.numbered_sgpr, 96
	.set _ZL18solve_tri_f32_fastILi64ELi2EEvPKfS1_Pf15HIP_vector_typeIjLj3EEmmmmmmii.num_named_barrier, 0
	.set _ZL18solve_tri_f32_fastILi64ELi2EEvPKfS1_Pf15HIP_vector_typeIjLj3EEmmmmmmii.private_seg_size, 0
	.set _ZL18solve_tri_f32_fastILi64ELi2EEvPKfS1_Pf15HIP_vector_typeIjLj3EEmmmmmmii.uses_vcc, 1
	.set _ZL18solve_tri_f32_fastILi64ELi2EEvPKfS1_Pf15HIP_vector_typeIjLj3EEmmmmmmii.uses_flat_scratch, 0
	.set _ZL18solve_tri_f32_fastILi64ELi2EEvPKfS1_Pf15HIP_vector_typeIjLj3EEmmmmmmii.has_dyn_sized_stack, 0
	.set _ZL18solve_tri_f32_fastILi64ELi2EEvPKfS1_Pf15HIP_vector_typeIjLj3EEmmmmmmii.has_recursion, 0
	.set _ZL18solve_tri_f32_fastILi64ELi2EEvPKfS1_Pf15HIP_vector_typeIjLj3EEmmmmmmii.has_indirect_call, 0
	.section	.AMDGPU.csdata,"",@progbits
; Kernel info:
; codeLenInByte = 19480
; TotalNumSgprs: 100
; NumVgprs: 18
; ScratchSize: 0
; MemoryBound: 0
; FloatMode: 240
; IeeeMode: 1
; LDSByteSize: 16384 bytes/workgroup (compile time only)
; SGPRBlocks: 12
; VGPRBlocks: 7
; NumSGPRsForWavesPerEU: 100
; NumVGPRsForWavesPerEU: 29
; Occupancy: 8
; WaveLimiterHint : 0
; COMPUTE_PGM_RSRC2:SCRATCH_EN: 0
; COMPUTE_PGM_RSRC2:USER_SGPR: 6
; COMPUTE_PGM_RSRC2:TRAP_HANDLER: 0
; COMPUTE_PGM_RSRC2:TGID_X_EN: 1
; COMPUTE_PGM_RSRC2:TGID_Y_EN: 0
; COMPUTE_PGM_RSRC2:TGID_Z_EN: 0
; COMPUTE_PGM_RSRC2:TIDIG_COMP_CNT: 1
	.section	.text._ZL18solve_tri_f32_fastILi64ELi1EEvPKfS1_Pf15HIP_vector_typeIjLj3EEmmmmmmii,"axG",@progbits,_ZL18solve_tri_f32_fastILi64ELi1EEvPKfS1_Pf15HIP_vector_typeIjLj3EEmmmmmmii,comdat
	.globl	_ZL18solve_tri_f32_fastILi64ELi1EEvPKfS1_Pf15HIP_vector_typeIjLj3EEmmmmmmii ; -- Begin function _ZL18solve_tri_f32_fastILi64ELi1EEvPKfS1_Pf15HIP_vector_typeIjLj3EEmmmmmmii
	.p2align	8
	.type	_ZL18solve_tri_f32_fastILi64ELi1EEvPKfS1_Pf15HIP_vector_typeIjLj3EEmmmmmmii,@function
_ZL18solve_tri_f32_fastILi64ELi1EEvPKfS1_Pf15HIP_vector_typeIjLj3EEmmmmmmii: ; @_ZL18solve_tri_f32_fastILi64ELi1EEvPKfS1_Pf15HIP_vector_typeIjLj3EEmmmmmmii
; %bb.0:
	v_cmp_eq_u32_e32 vcc, 0, v1
	s_and_saveexec_b64 s[0:1], vcc
	s_cbranch_execz .LBB10_321
; %bb.1:
	s_load_dwordx4 s[0:3], s[4:5], 0x18
	s_load_dwordx2 s[16:17], s[4:5], 0x0
	s_load_dwordx8 s[8:15], s[4:5], 0x28
	v_lshlrev_b32_e32 v1, 2, v0
	v_add_u32_e32 v22, 0x400, v1
	s_waitcnt lgkmcnt(0)
	s_mul_hi_u32 s0, s0, s6
	s_add_i32 s0, s6, s0
	s_lshr_b32 s33, s0, s1
	s_mul_i32 s0, s33, s2
	s_sub_i32 s48, s6, s0
	s_mul_i32 s1, s9, s48
	s_mul_hi_u32 s2, s8, s48
	s_mul_i32 s0, s8, s48
	s_add_i32 s1, s2, s1
	s_lshl_b64 s[0:1], s[0:1], 2
	s_add_u32 s2, s16, s0
	s_addc_u32 s3, s17, s1
	s_mul_i32 s0, s11, s33
	s_mul_hi_u32 s1, s10, s33
	s_add_i32 s1, s1, s0
	s_mul_i32 s0, s10, s33
	s_lshl_b64 s[0:1], s[0:1], 2
	s_add_u32 s0, s2, s0
	s_addc_u32 s1, s3, s1
	global_load_dword v2, v1, s[0:1]
	global_load_dword v3, v1, s[0:1] offset:128
	global_load_dword v4, v1, s[0:1] offset:256
	;; [unrolled: 1-line block ×23, first 2 shown]
	s_movk_i32 s2, 0x1000
	v_or_b32_e32 v23, 0x1000, v1
	v_add_u32_e32 v24, 0x800, v1
	s_waitcnt vmcnt(22)
	ds_write2_b32 v1, v2, v3 offset1:32
	s_waitcnt vmcnt(20)
	ds_write2_b32 v1, v4, v5 offset0:64 offset1:96
	s_waitcnt vmcnt(18)
	ds_write2_b32 v22, v6, v7 offset1:32
	v_mov_b32_e32 v2, s1
	v_add_co_u32_e32 v3, vcc, s0, v1
	v_addc_co_u32_e32 v2, vcc, 0, v2, vcc
	global_load_dword v6, v1, s[0:1] offset:3072
	global_load_dword v7, v1, s[0:1] offset:3200
	;; [unrolled: 1-line block ×8, first 2 shown]
	s_waitcnt vmcnt(24)
	ds_write2_b32 v22, v8, v9 offset0:64 offset1:96
	s_waitcnt vmcnt(22)
	ds_write2_b32 v22, v10, v11 offset0:128 offset1:160
	v_add_co_u32_e32 v4, vcc, s2, v3
	s_waitcnt vmcnt(20)
	ds_write2_b32 v22, v12, v13 offset0:192 offset1:224
	s_waitcnt vmcnt(18)
	ds_write2_b32 v24, v14, v15 offset1:32
	s_waitcnt vmcnt(16)
	ds_write2_b32 v24, v16, v17 offset0:64 offset1:96
	v_addc_co_u32_e32 v5, vcc, 0, v2, vcc
	global_load_dword v8, v23, s[0:1]
	global_load_dword v9, v[4:5], off offset:128
	global_load_dword v10, v[4:5], off offset:256
	;; [unrolled: 1-line block ×7, first 2 shown]
	s_waitcnt vmcnt(22)
	ds_write2_b32 v24, v18, v19 offset0:128 offset1:160
	s_waitcnt vmcnt(20)
	ds_write2_b32 v24, v20, v21 offset0:192 offset1:224
	global_load_dword v16, v[4:5], off offset:1024
	global_load_dword v17, v[4:5], off offset:1152
	;; [unrolled: 1-line block ×6, first 2 shown]
	v_add_u32_e32 v22, 0xc00, v1
	s_waitcnt vmcnt(24)
	ds_write2_b32 v1, v25, v26 offset0:128 offset1:160
	s_movk_i32 s2, 0x2000
	v_or_b32_e32 v25, 0x2000, v1
	s_waitcnt vmcnt(20)
	ds_write2_b32 v22, v6, v7 offset1:32
	global_load_dword v6, v[4:5], off offset:1792
	global_load_dword v7, v[4:5], off offset:1920
	s_waitcnt vmcnt(20)
	ds_write2_b32 v22, v29, v30 offset0:64 offset1:96
	s_waitcnt vmcnt(18)
	ds_write2_b32 v22, v31, v32 offset0:128 offset1:160
	;; [unrolled: 2-line block ×3, first 2 shown]
	ds_write2_b32 v1, v27, v28 offset0:192 offset1:224
	v_add_u32_e32 v22, 0x1000, v1
	s_waitcnt vmcnt(14)
	ds_write2_b32 v22, v8, v9 offset1:32
	s_waitcnt vmcnt(12)
	ds_write2_b32 v22, v10, v11 offset0:64 offset1:96
	s_waitcnt vmcnt(10)
	ds_write2_b32 v22, v12, v13 offset0:128 offset1:160
	;; [unrolled: 2-line block ×3, first 2 shown]
	v_add_u32_e32 v8, 0x1400, v1
	s_waitcnt vmcnt(6)
	ds_write2_b32 v8, v16, v17 offset1:32
	s_waitcnt vmcnt(4)
	ds_write2_b32 v8, v18, v19 offset0:64 offset1:96
	s_waitcnt vmcnt(2)
	ds_write2_b32 v8, v20, v21 offset0:128 offset1:160
	global_load_dword v9, v[4:5], off offset:2048
	global_load_dword v10, v[4:5], off offset:2176
	global_load_dword v11, v[4:5], off offset:2304
	global_load_dword v12, v[4:5], off offset:2432
	global_load_dword v13, v[4:5], off offset:2560
	global_load_dword v14, v[4:5], off offset:2688
	global_load_dword v15, v[4:5], off offset:2816
	global_load_dword v16, v[4:5], off offset:2944
	global_load_dword v17, v[4:5], off offset:3072
	global_load_dword v18, v[4:5], off offset:3200
	global_load_dword v19, v[4:5], off offset:3328
	global_load_dword v20, v[4:5], off offset:3456
	global_load_dword v21, v[4:5], off offset:3584
	global_load_dword v22, v[4:5], off offset:3712
	global_load_dword v23, v[4:5], off offset:3840
	global_load_dword v24, v[4:5], off offset:3968
	v_add_co_u32_e32 v4, vcc, s2, v3
	v_addc_co_u32_e32 v5, vcc, 0, v2, vcc
	global_load_dword v26, v25, s[0:1]
	global_load_dword v27, v[4:5], off offset:128
	global_load_dword v28, v[4:5], off offset:256
	;; [unrolled: 1-line block ×5, first 2 shown]
	s_movk_i32 s2, 0x3e0
	v_cmp_gt_u32_e32 vcc, s2, v0
	s_waitcnt vmcnt(22)
	ds_write2_b32 v8, v6, v7 offset0:192 offset1:224
	v_add_u32_e32 v6, 0x1800, v1
	s_waitcnt vmcnt(20)
	ds_write2_b32 v6, v9, v10 offset1:32
	s_waitcnt vmcnt(18)
	ds_write2_b32 v6, v11, v12 offset0:64 offset1:96
	global_load_dword v7, v[4:5], off offset:768
	global_load_dword v8, v[4:5], off offset:896
	s_waitcnt vmcnt(18)
	ds_write2_b32 v6, v13, v14 offset0:128 offset1:160
	s_waitcnt vmcnt(16)
	ds_write2_b32 v6, v15, v16 offset0:192 offset1:224
	v_add_u32_e32 v6, 0x1c00, v1
	s_waitcnt vmcnt(14)
	ds_write2_b32 v6, v17, v18 offset1:32
	s_waitcnt vmcnt(12)
	ds_write2_b32 v6, v19, v20 offset0:64 offset1:96
	s_waitcnt vmcnt(10)
	ds_write2_b32 v6, v21, v22 offset0:128 offset1:160
	;; [unrolled: 2-line block ×3, first 2 shown]
	v_add_u32_e32 v6, 0x2000, v1
	s_waitcnt vmcnt(6)
	ds_write2_b32 v6, v26, v27 offset1:32
	s_waitcnt vmcnt(4)
	ds_write2_b32 v6, v28, v29 offset0:64 offset1:96
	s_waitcnt vmcnt(2)
	ds_write2_b32 v6, v30, v31 offset0:128 offset1:160
	global_load_dword v9, v[4:5], off offset:1024
	global_load_dword v10, v[4:5], off offset:1152
	;; [unrolled: 1-line block ×23, first 2 shown]
	s_nop 0
	global_load_dword v4, v[4:5], off offset:3968
	v_or_b32_e32 v5, 0x3000, v1
	global_load_dword v5, v5, s[0:1]
	s_waitcnt vmcnt(25)
	ds_write2_b32 v6, v7, v8 offset0:192 offset1:224
	v_add_u32_e32 v6, 0x2400, v1
	s_waitcnt vmcnt(23)
	ds_write2_b32 v6, v9, v10 offset1:32
	s_waitcnt vmcnt(21)
	ds_write2_b32 v6, v11, v12 offset0:64 offset1:96
	s_waitcnt vmcnt(19)
	ds_write2_b32 v6, v13, v14 offset0:128 offset1:160
	s_waitcnt vmcnt(17)
	ds_write2_b32 v6, v15, v16 offset0:192 offset1:224
	v_add_u32_e32 v6, 0x2800, v1
	s_waitcnt vmcnt(15)
	ds_write2_b32 v6, v17, v18 offset1:32
	s_waitcnt vmcnt(13)
	ds_write2_b32 v6, v19, v20 offset0:64 offset1:96
	s_waitcnt vmcnt(11)
	ds_write2_b32 v6, v21, v22 offset0:128 offset1:160
	;; [unrolled: 9-line block ×3, first 2 shown]
	s_waitcnt vmcnt(1)
	ds_write2_b32 v6, v31, v4 offset0:192 offset1:224
	s_waitcnt vmcnt(0)
	ds_write_b32 v1, v5 offset:12288
	s_and_saveexec_b64 s[2:3], vcc
	s_cbranch_execz .LBB10_3
; %bb.2:
	v_add_co_u32_e32 v4, vcc, 0x3000, v3
	v_addc_co_u32_e32 v5, vcc, 0, v2, vcc
	global_load_dword v4, v[4:5], off offset:128
	s_waitcnt vmcnt(0)
	ds_write_b32 v1, v4 offset:12416
.LBB10_3:
	s_or_b64 exec, exec, s[2:3]
	s_movk_i32 s2, 0x3c0
	v_cmp_gt_u32_e32 vcc, s2, v0
	s_and_saveexec_b64 s[2:3], vcc
	s_cbranch_execz .LBB10_5
; %bb.4:
	v_add_co_u32_e32 v4, vcc, 0x3000, v3
	v_addc_co_u32_e32 v5, vcc, 0, v2, vcc
	global_load_dword v4, v[4:5], off offset:256
	s_waitcnt vmcnt(0)
	ds_write_b32 v1, v4 offset:12544
.LBB10_5:
	s_or_b64 exec, exec, s[2:3]
	s_movk_i32 s2, 0x3a0
	v_cmp_gt_u32_e32 vcc, s2, v0
	s_and_saveexec_b64 s[2:3], vcc
	s_cbranch_execz .LBB10_7
; %bb.6:
	v_add_co_u32_e32 v4, vcc, 0x3000, v3
	v_addc_co_u32_e32 v5, vcc, 0, v2, vcc
	global_load_dword v4, v[4:5], off offset:384
	s_waitcnt vmcnt(0)
	ds_write_b32 v1, v4 offset:12672
.LBB10_7:
	s_or_b64 exec, exec, s[2:3]
	s_movk_i32 s2, 0x380
	v_cmp_gt_u32_e32 vcc, s2, v0
	s_and_saveexec_b64 s[2:3], vcc
	s_cbranch_execz .LBB10_9
; %bb.8:
	v_add_co_u32_e32 v4, vcc, 0x3000, v3
	v_addc_co_u32_e32 v5, vcc, 0, v2, vcc
	global_load_dword v4, v[4:5], off offset:512
	s_waitcnt vmcnt(0)
	ds_write_b32 v1, v4 offset:12800
.LBB10_9:
	s_or_b64 exec, exec, s[2:3]
	s_movk_i32 s2, 0x360
	v_cmp_gt_u32_e32 vcc, s2, v0
	s_and_saveexec_b64 s[2:3], vcc
	s_cbranch_execz .LBB10_11
; %bb.10:
	v_add_co_u32_e32 v4, vcc, 0x3000, v3
	v_addc_co_u32_e32 v5, vcc, 0, v2, vcc
	global_load_dword v4, v[4:5], off offset:640
	s_waitcnt vmcnt(0)
	ds_write_b32 v1, v4 offset:12928
.LBB10_11:
	s_or_b64 exec, exec, s[2:3]
	s_movk_i32 s2, 0x340
	v_cmp_gt_u32_e32 vcc, s2, v0
	s_and_saveexec_b64 s[2:3], vcc
	s_cbranch_execz .LBB10_13
; %bb.12:
	v_add_co_u32_e32 v4, vcc, 0x3000, v3
	v_addc_co_u32_e32 v5, vcc, 0, v2, vcc
	global_load_dword v4, v[4:5], off offset:768
	s_waitcnt vmcnt(0)
	ds_write_b32 v1, v4 offset:13056
.LBB10_13:
	s_or_b64 exec, exec, s[2:3]
	s_movk_i32 s2, 0x320
	v_cmp_gt_u32_e32 vcc, s2, v0
	s_and_saveexec_b64 s[2:3], vcc
	s_cbranch_execz .LBB10_15
; %bb.14:
	v_add_co_u32_e32 v4, vcc, 0x3000, v3
	v_addc_co_u32_e32 v5, vcc, 0, v2, vcc
	global_load_dword v4, v[4:5], off offset:896
	s_waitcnt vmcnt(0)
	ds_write_b32 v1, v4 offset:13184
.LBB10_15:
	s_or_b64 exec, exec, s[2:3]
	s_movk_i32 s2, 0x300
	v_cmp_gt_u32_e32 vcc, s2, v0
	s_and_saveexec_b64 s[2:3], vcc
	s_cbranch_execz .LBB10_17
; %bb.16:
	v_add_co_u32_e32 v4, vcc, 0x3000, v3
	v_addc_co_u32_e32 v5, vcc, 0, v2, vcc
	global_load_dword v4, v[4:5], off offset:1024
	s_waitcnt vmcnt(0)
	ds_write_b32 v1, v4 offset:13312
.LBB10_17:
	s_or_b64 exec, exec, s[2:3]
	s_movk_i32 s2, 0x2e0
	v_cmp_gt_u32_e32 vcc, s2, v0
	s_and_saveexec_b64 s[2:3], vcc
	s_cbranch_execz .LBB10_19
; %bb.18:
	v_add_co_u32_e32 v4, vcc, 0x3000, v3
	v_addc_co_u32_e32 v5, vcc, 0, v2, vcc
	global_load_dword v4, v[4:5], off offset:1152
	s_waitcnt vmcnt(0)
	ds_write_b32 v1, v4 offset:13440
.LBB10_19:
	s_or_b64 exec, exec, s[2:3]
	s_movk_i32 s2, 0x2c0
	v_cmp_gt_u32_e32 vcc, s2, v0
	s_and_saveexec_b64 s[2:3], vcc
	s_cbranch_execz .LBB10_21
; %bb.20:
	v_add_co_u32_e32 v4, vcc, 0x3000, v3
	v_addc_co_u32_e32 v5, vcc, 0, v2, vcc
	global_load_dword v4, v[4:5], off offset:1280
	s_waitcnt vmcnt(0)
	ds_write_b32 v1, v4 offset:13568
.LBB10_21:
	s_or_b64 exec, exec, s[2:3]
	s_movk_i32 s2, 0x2a0
	v_cmp_gt_u32_e32 vcc, s2, v0
	s_and_saveexec_b64 s[2:3], vcc
	s_cbranch_execz .LBB10_23
; %bb.22:
	v_add_co_u32_e32 v4, vcc, 0x3000, v3
	v_addc_co_u32_e32 v5, vcc, 0, v2, vcc
	global_load_dword v4, v[4:5], off offset:1408
	s_waitcnt vmcnt(0)
	ds_write_b32 v1, v4 offset:13696
.LBB10_23:
	s_or_b64 exec, exec, s[2:3]
	s_movk_i32 s2, 0x280
	v_cmp_gt_u32_e32 vcc, s2, v0
	s_and_saveexec_b64 s[2:3], vcc
	s_cbranch_execz .LBB10_25
; %bb.24:
	v_add_co_u32_e32 v4, vcc, 0x3000, v3
	v_addc_co_u32_e32 v5, vcc, 0, v2, vcc
	global_load_dword v4, v[4:5], off offset:1536
	s_waitcnt vmcnt(0)
	ds_write_b32 v1, v4 offset:13824
.LBB10_25:
	s_or_b64 exec, exec, s[2:3]
	s_movk_i32 s2, 0x260
	v_cmp_gt_u32_e32 vcc, s2, v0
	s_and_saveexec_b64 s[2:3], vcc
	s_cbranch_execz .LBB10_27
; %bb.26:
	v_add_co_u32_e32 v4, vcc, 0x3000, v3
	v_addc_co_u32_e32 v5, vcc, 0, v2, vcc
	global_load_dword v4, v[4:5], off offset:1664
	s_waitcnt vmcnt(0)
	ds_write_b32 v1, v4 offset:13952
.LBB10_27:
	s_or_b64 exec, exec, s[2:3]
	s_movk_i32 s2, 0x240
	v_cmp_gt_u32_e32 vcc, s2, v0
	s_and_saveexec_b64 s[2:3], vcc
	s_cbranch_execz .LBB10_29
; %bb.28:
	v_add_co_u32_e32 v4, vcc, 0x3000, v3
	v_addc_co_u32_e32 v5, vcc, 0, v2, vcc
	global_load_dword v4, v[4:5], off offset:1792
	s_waitcnt vmcnt(0)
	ds_write_b32 v1, v4 offset:14080
.LBB10_29:
	s_or_b64 exec, exec, s[2:3]
	s_movk_i32 s2, 0x220
	v_cmp_gt_u32_e32 vcc, s2, v0
	s_and_saveexec_b64 s[2:3], vcc
	s_cbranch_execz .LBB10_31
; %bb.30:
	v_add_co_u32_e32 v4, vcc, 0x3000, v3
	v_addc_co_u32_e32 v5, vcc, 0, v2, vcc
	global_load_dword v4, v[4:5], off offset:1920
	s_waitcnt vmcnt(0)
	ds_write_b32 v1, v4 offset:14208
.LBB10_31:
	s_or_b64 exec, exec, s[2:3]
	s_movk_i32 s2, 0x200
	v_cmp_gt_u32_e32 vcc, s2, v0
	s_and_saveexec_b64 s[2:3], vcc
	s_cbranch_execz .LBB10_33
; %bb.32:
	v_mov_b32_e32 v4, 0x3800
	v_lshl_or_b32 v4, v0, 2, v4
	global_load_dword v4, v4, s[0:1]
	s_waitcnt vmcnt(0)
	ds_write_b32 v1, v4 offset:14336
.LBB10_33:
	s_or_b64 exec, exec, s[2:3]
	s_movk_i32 s2, 0x1e0
	v_cmp_gt_u32_e32 vcc, s2, v0
	s_and_saveexec_b64 s[2:3], vcc
	s_cbranch_execz .LBB10_35
; %bb.34:
	v_add_co_u32_e32 v4, vcc, 0x3000, v3
	v_addc_co_u32_e32 v5, vcc, 0, v2, vcc
	global_load_dword v4, v[4:5], off offset:2176
	s_waitcnt vmcnt(0)
	ds_write_b32 v1, v4 offset:14464
.LBB10_35:
	s_or_b64 exec, exec, s[2:3]
	s_movk_i32 s2, 0x1c0
	v_cmp_gt_u32_e32 vcc, s2, v0
	s_and_saveexec_b64 s[2:3], vcc
	s_cbranch_execz .LBB10_37
; %bb.36:
	v_add_co_u32_e32 v4, vcc, 0x3000, v3
	v_addc_co_u32_e32 v5, vcc, 0, v2, vcc
	global_load_dword v4, v[4:5], off offset:2304
	s_waitcnt vmcnt(0)
	ds_write_b32 v1, v4 offset:14592
.LBB10_37:
	;; [unrolled: 12-line block ×7, first 2 shown]
	s_or_b64 exec, exec, s[2:3]
	s_movk_i32 s2, 0x100
	v_cmp_gt_u32_e32 vcc, s2, v0
	s_and_saveexec_b64 s[2:3], vcc
	s_cbranch_execz .LBB10_49
; %bb.48:
	v_mov_b32_e32 v4, 0x3c00
	v_lshl_or_b32 v4, v0, 2, v4
	global_load_dword v4, v4, s[0:1]
	s_waitcnt vmcnt(0)
	ds_write_b32 v1, v4 offset:15360
.LBB10_49:
	s_or_b64 exec, exec, s[2:3]
	s_movk_i32 s2, 0xe0
	v_cmp_gt_u32_e32 vcc, s2, v0
	s_and_saveexec_b64 s[2:3], vcc
	s_cbranch_execz .LBB10_51
; %bb.50:
	v_add_co_u32_e32 v4, vcc, 0x3000, v3
	v_addc_co_u32_e32 v5, vcc, 0, v2, vcc
	global_load_dword v4, v[4:5], off offset:3200
	s_waitcnt vmcnt(0)
	ds_write_b32 v1, v4 offset:15488
.LBB10_51:
	s_or_b64 exec, exec, s[2:3]
	s_movk_i32 s2, 0xc0
	v_cmp_gt_u32_e32 vcc, s2, v0
	s_and_saveexec_b64 s[2:3], vcc
	s_cbranch_execz .LBB10_53
; %bb.52:
	v_add_co_u32_e32 v4, vcc, 0x3000, v3
	v_addc_co_u32_e32 v5, vcc, 0, v2, vcc
	global_load_dword v4, v[4:5], off offset:3328
	s_waitcnt vmcnt(0)
	ds_write_b32 v1, v4 offset:15616
.LBB10_53:
	;; [unrolled: 12-line block ×3, first 2 shown]
	s_or_b64 exec, exec, s[2:3]
	s_movk_i32 s2, 0x80
	v_cmp_gt_u32_e32 vcc, s2, v0
	s_and_saveexec_b64 s[2:3], vcc
	s_cbranch_execz .LBB10_57
; %bb.56:
	v_mov_b32_e32 v4, 0x3e00
	v_lshl_or_b32 v4, v0, 2, v4
	global_load_dword v4, v4, s[0:1]
	s_waitcnt vmcnt(0)
	ds_write_b32 v1, v4 offset:15872
.LBB10_57:
	s_or_b64 exec, exec, s[2:3]
	s_load_dwordx4 s[44:47], s[4:5], 0x48
	s_movk_i32 s2, 0x60
	v_cmp_gt_u32_e32 vcc, s2, v0
	s_and_saveexec_b64 s[2:3], vcc
	s_cbranch_execz .LBB10_59
; %bb.58:
	v_add_co_u32_e32 v3, vcc, 0x3000, v3
	v_addc_co_u32_e32 v4, vcc, 0, v2, vcc
	global_load_dword v2, v[3:4], off offset:3712
	s_waitcnt vmcnt(0)
	ds_write_b32 v1, v2 offset:16000
.LBB10_59:
	s_or_b64 exec, exec, s[2:3]
	s_load_dwordx2 s[2:3], s[4:5], 0x8
	v_cmp_gt_u32_e64 s[8:9], 64, v0
	s_mov_b64 s[6:7], exec
                                        ; implicit-def: $vgpr35 : SGPR spill to VGPR lane
	v_writelane_b32 v35, s8, 0
	v_writelane_b32 v35, s9, 1
	s_and_b64 s[8:9], s[6:7], s[8:9]
	s_mov_b64 exec, s[8:9]
	s_cbranch_execz .LBB10_61
; %bb.60:
	v_mov_b32_e32 v2, 0x3f00
	v_lshl_or_b32 v2, v0, 2, v2
	global_load_dword v2, v2, s[0:1]
	s_waitcnt vmcnt(0)
	ds_write_b32 v1, v2 offset:16128
.LBB10_61:
	s_or_b64 exec, exec, s[6:7]
	v_cmp_gt_u32_e64 s[8:9], 32, v0
	s_mov_b64 s[6:7], exec
	v_writelane_b32 v35, s8, 2
	v_writelane_b32 v35, s9, 3
	s_and_b64 s[8:9], s[6:7], s[8:9]
	s_mov_b64 exec, s[8:9]
	s_cbranch_execz .LBB10_63
; %bb.62:
	v_mov_b32_e32 v2, 0x3f80
	v_lshl_or_b32 v2, v0, 2, v2
	global_load_dword v2, v2, s[0:1]
	s_waitcnt vmcnt(0)
	ds_write_b32 v1, v2 offset:16256
.LBB10_63:
	s_or_b64 exec, exec, s[6:7]
	s_mul_i32 s0, s13, s48
	s_mul_hi_u32 s1, s12, s48
	s_add_i32 s1, s1, s0
	s_mul_i32 s0, s12, s48
	s_mul_i32 s6, s15, s33
	s_mul_hi_u32 s7, s14, s33
	s_add_i32 s7, s7, s6
	s_lshl_b64 s[0:1], s[0:1], 2
	s_mul_i32 s6, s14, s33
	s_waitcnt lgkmcnt(0)
	s_add_u32 s2, s2, s0
	s_addc_u32 s3, s3, s1
	s_lshl_b64 s[0:1], s[6:7], 2
	s_add_u32 s0, s2, s0
	s_addc_u32 s1, s3, s1
	v_mov_b32_e32 v8, 0
	v_mov_b32_e32 v7, 0
	s_barrier
	s_mov_b64 s[2:3], exec
	v_readlane_b32 s6, v35, 0
	v_readlane_b32 s7, v35, 1
	s_and_b64 s[6:7], s[2:3], s[6:7]
	s_mov_b64 exec, s[6:7]
	s_cbranch_execz .LBB10_65
; %bb.64:
	global_load_dword v7, v1, s[0:1]
.LBB10_65:
	s_or_b64 exec, exec, s[2:3]
	s_mov_b64 s[2:3], exec
	v_readlane_b32 s6, v35, 2
	v_readlane_b32 s7, v35, 3
	s_and_b64 s[6:7], s[2:3], s[6:7]
	s_mov_b64 exec, s[6:7]
	s_cbranch_execnz .LBB10_322
; %bb.66:
	s_or_b64 exec, exec, s[2:3]
	v_cmp_eq_u32_e64 s[6:7], 0, v0
	s_and_saveexec_b64 s[0:1], s[6:7]
	s_cbranch_execnz .LBB10_323
.LBB10_67:
	s_or_b64 exec, exec, s[0:1]
	v_mov_b32_e32 v4, 0
	s_and_saveexec_b64 s[0:1], s[6:7]
	s_cbranch_execz .LBB10_69
.LBB10_68:
	ds_read_b32 v2, v1 offset:256
	s_waitcnt vmcnt(0) lgkmcnt(0)
	v_fma_f32 v4, v7, v2, 0
.LBB10_69:
	s_or_b64 exec, exec, s[0:1]
	v_mbcnt_lo_u32_b32 v2, -1, 0
	v_mbcnt_hi_u32_b32 v6, -1, v2
	v_and_b32_e32 v2, 0x60, v6
	v_add_u32_e32 v9, 32, v2
	v_xor_b32_e32 v2, 16, v6
	v_cmp_lt_i32_e32 vcc, v2, v9
	v_cndmask_b32_e32 v2, v6, v2, vcc
	v_lshlrev_b32_e32 v2, 2, v2
	ds_bpermute_b32 v5, v2, v4
	v_xor_b32_e32 v3, 8, v6
	v_cmp_lt_i32_e32 vcc, v3, v9
	v_cndmask_b32_e32 v3, v6, v3, vcc
	v_lshlrev_b32_e32 v3, 2, v3
	s_waitcnt lgkmcnt(0)
	v_add_f32_e32 v5, v4, v5
	ds_bpermute_b32 v10, v3, v5
	v_xor_b32_e32 v4, 4, v6
	v_cmp_lt_i32_e32 vcc, v4, v9
	v_cndmask_b32_e32 v4, v6, v4, vcc
	v_lshlrev_b32_e32 v4, 2, v4
	s_waitcnt lgkmcnt(0)
	v_add_f32_e32 v10, v5, v10
	;; [unrolled: 7-line block ×4, first 2 shown]
	ds_bpermute_b32 v10, v6, v9
	v_cmp_eq_u32_e64 s[72:73], 1, v0
	s_and_saveexec_b64 s[0:1], s[72:73]
	s_cbranch_execz .LBB10_71
; %bb.70:
	v_mov_b32_e32 v11, 0
	ds_read_b32 v11, v11 offset:260
	s_waitcnt lgkmcnt(1)
	v_add_f32_e32 v9, v9, v10
	s_waitcnt vmcnt(0)
	v_sub_f32_e32 v7, v7, v9
	s_waitcnt lgkmcnt(0)
	v_div_scale_f32 v9, s[2:3], v11, v11, v7
	v_div_scale_f32 v10, vcc, v7, v11, v7
	v_rcp_f32_e32 v12, v9
	v_fma_f32 v13, -v9, v12, 1.0
	v_fmac_f32_e32 v12, v13, v12
	v_mul_f32_e32 v13, v10, v12
	v_fma_f32 v14, -v9, v13, v10
	v_fmac_f32_e32 v13, v14, v12
	v_fma_f32 v9, -v9, v13, v10
	v_div_fmas_f32 v9, v9, v12, v13
	v_div_fixup_f32 v7, v9, v11, v7
.LBB10_71:
	s_or_b64 exec, exec, s[0:1]
	v_mov_b32_e32 v9, 0
	v_cmp_gt_u32_e64 s[2:3], 2, v0
	s_mov_b64 s[0:1], exec
	v_writelane_b32 v35, s2, 4
	v_writelane_b32 v35, s3, 5
	s_and_b64 s[2:3], s[0:1], s[2:3]
	s_mov_b64 exec, s[2:3]
	s_cbranch_execz .LBB10_73
; %bb.72:
	ds_read_b32 v9, v1 offset:512
	s_waitcnt vmcnt(0) lgkmcnt(0)
	v_fma_f32 v9, v7, v9, 0
.LBB10_73:
	s_or_b64 exec, exec, s[0:1]
	s_waitcnt lgkmcnt(0)
	ds_bpermute_b32 v10, v2, v9
	v_cmp_eq_u32_e64 s[74:75], 2, v0
	s_waitcnt lgkmcnt(0)
	v_add_f32_e32 v9, v9, v10
	ds_bpermute_b32 v10, v3, v9
	s_waitcnt lgkmcnt(0)
	v_add_f32_e32 v9, v9, v10
	ds_bpermute_b32 v10, v4, v9
	s_waitcnt lgkmcnt(0)
	v_add_f32_e32 v9, v9, v10
	ds_bpermute_b32 v10, v5, v9
	s_waitcnt lgkmcnt(0)
	v_add_f32_e32 v9, v9, v10
	ds_bpermute_b32 v10, v6, v9
	s_and_saveexec_b64 s[0:1], s[74:75]
	s_cbranch_execz .LBB10_75
; %bb.74:
	v_mov_b32_e32 v11, 0
	ds_read_b32 v11, v11 offset:520
	s_waitcnt lgkmcnt(1)
	v_add_f32_e32 v9, v9, v10
	s_waitcnt vmcnt(0)
	v_sub_f32_e32 v7, v7, v9
	s_waitcnt lgkmcnt(0)
	v_div_scale_f32 v9, s[2:3], v11, v11, v7
	v_div_scale_f32 v10, vcc, v7, v11, v7
	v_rcp_f32_e32 v12, v9
	v_fma_f32 v13, -v9, v12, 1.0
	v_fmac_f32_e32 v12, v13, v12
	v_mul_f32_e32 v13, v10, v12
	v_fma_f32 v14, -v9, v13, v10
	v_fmac_f32_e32 v13, v14, v12
	v_fma_f32 v9, -v9, v13, v10
	v_div_fmas_f32 v9, v9, v12, v13
	v_div_fixup_f32 v7, v9, v11, v7
.LBB10_75:
	s_or_b64 exec, exec, s[0:1]
	v_mov_b32_e32 v9, 0
	v_cmp_gt_u32_e64 s[2:3], 3, v0
	s_mov_b64 s[0:1], exec
	v_writelane_b32 v35, s2, 6
	v_writelane_b32 v35, s3, 7
	s_and_b64 s[2:3], s[0:1], s[2:3]
	s_mov_b64 exec, s[2:3]
	s_cbranch_execz .LBB10_77
; %bb.76:
	ds_read_b32 v9, v1 offset:768
	s_waitcnt vmcnt(0) lgkmcnt(0)
	v_fma_f32 v9, v7, v9, 0
.LBB10_77:
	s_or_b64 exec, exec, s[0:1]
	s_waitcnt lgkmcnt(0)
	ds_bpermute_b32 v10, v2, v9
	v_cmp_eq_u32_e64 s[76:77], 3, v0
	s_waitcnt lgkmcnt(0)
	v_add_f32_e32 v9, v9, v10
	ds_bpermute_b32 v10, v3, v9
	s_waitcnt lgkmcnt(0)
	v_add_f32_e32 v9, v9, v10
	ds_bpermute_b32 v10, v4, v9
	s_waitcnt lgkmcnt(0)
	v_add_f32_e32 v9, v9, v10
	ds_bpermute_b32 v10, v5, v9
	s_waitcnt lgkmcnt(0)
	v_add_f32_e32 v9, v9, v10
	ds_bpermute_b32 v10, v6, v9
	;; [unrolled: 52-line block ×18, first 2 shown]
	s_and_saveexec_b64 s[18:19], s[16:17]
	s_cbranch_execz .LBB10_143
; %bb.142:
	v_mov_b32_e32 v11, 0
	ds_read_b32 v11, v11 offset:4940
	s_waitcnt lgkmcnt(1)
	v_add_f32_e32 v9, v9, v10
	s_waitcnt vmcnt(0)
	v_sub_f32_e32 v7, v7, v9
	s_waitcnt lgkmcnt(0)
	v_div_scale_f32 v9, s[20:21], v11, v11, v7
	v_div_scale_f32 v10, vcc, v7, v11, v7
	v_rcp_f32_e32 v12, v9
	v_fma_f32 v13, -v9, v12, 1.0
	v_fmac_f32_e32 v12, v13, v12
	v_mul_f32_e32 v13, v10, v12
	v_fma_f32 v14, -v9, v13, v10
	v_fmac_f32_e32 v13, v14, v12
	v_fma_f32 v9, -v9, v13, v10
	v_div_fmas_f32 v9, v9, v12, v13
	v_div_fixup_f32 v7, v9, v11, v7
.LBB10_143:
	s_or_b64 exec, exec, s[18:19]
	v_cmp_gt_u32_e64 s[50:51], 20, v0
	v_mov_b32_e32 v9, 0
	s_and_saveexec_b64 s[18:19], s[50:51]
	s_cbranch_execz .LBB10_145
; %bb.144:
	ds_read_b32 v9, v1 offset:5120
	s_waitcnt vmcnt(0) lgkmcnt(0)
	v_fma_f32 v9, v7, v9, 0
.LBB10_145:
	s_or_b64 exec, exec, s[18:19]
	s_waitcnt lgkmcnt(0)
	ds_bpermute_b32 v10, v2, v9
	v_cmp_eq_u32_e64 s[18:19], 20, v0
	s_waitcnt lgkmcnt(0)
	v_add_f32_e32 v9, v9, v10
	ds_bpermute_b32 v10, v3, v9
	s_waitcnt lgkmcnt(0)
	v_add_f32_e32 v9, v9, v10
	ds_bpermute_b32 v10, v4, v9
	s_waitcnt lgkmcnt(0)
	v_add_f32_e32 v9, v9, v10
	ds_bpermute_b32 v10, v5, v9
	s_waitcnt lgkmcnt(0)
	v_add_f32_e32 v9, v9, v10
	ds_bpermute_b32 v10, v6, v9
	s_and_saveexec_b64 s[20:21], s[18:19]
	s_cbranch_execz .LBB10_147
; %bb.146:
	v_mov_b32_e32 v11, 0
	ds_read_b32 v11, v11 offset:5200
	s_waitcnt lgkmcnt(1)
	v_add_f32_e32 v9, v9, v10
	s_waitcnt vmcnt(0)
	v_sub_f32_e32 v7, v7, v9
	s_waitcnt lgkmcnt(0)
	v_div_scale_f32 v9, s[22:23], v11, v11, v7
	v_div_scale_f32 v10, vcc, v7, v11, v7
	v_rcp_f32_e32 v12, v9
	v_fma_f32 v13, -v9, v12, 1.0
	v_fmac_f32_e32 v12, v13, v12
	v_mul_f32_e32 v13, v10, v12
	v_fma_f32 v14, -v9, v13, v10
	v_fmac_f32_e32 v13, v14, v12
	v_fma_f32 v9, -v9, v13, v10
	v_div_fmas_f32 v9, v9, v12, v13
	v_div_fixup_f32 v7, v9, v11, v7
.LBB10_147:
	s_or_b64 exec, exec, s[20:21]
	v_cmp_gt_u32_e64 s[52:53], 21, v0
	v_mov_b32_e32 v9, 0
	s_and_saveexec_b64 s[20:21], s[52:53]
	s_cbranch_execz .LBB10_149
; %bb.148:
	ds_read_b32 v9, v1 offset:5376
	s_waitcnt vmcnt(0) lgkmcnt(0)
	v_fma_f32 v9, v7, v9, 0
.LBB10_149:
	s_or_b64 exec, exec, s[20:21]
	s_waitcnt lgkmcnt(0)
	ds_bpermute_b32 v10, v2, v9
	v_cmp_eq_u32_e64 s[20:21], 21, v0
	s_waitcnt lgkmcnt(0)
	v_add_f32_e32 v9, v9, v10
	ds_bpermute_b32 v10, v3, v9
	s_waitcnt lgkmcnt(0)
	v_add_f32_e32 v9, v9, v10
	ds_bpermute_b32 v10, v4, v9
	s_waitcnt lgkmcnt(0)
	v_add_f32_e32 v9, v9, v10
	ds_bpermute_b32 v10, v5, v9
	s_waitcnt lgkmcnt(0)
	v_add_f32_e32 v9, v9, v10
	ds_bpermute_b32 v10, v6, v9
	;; [unrolled: 48-line block ×11, first 2 shown]
	s_and_saveexec_b64 s[42:43], s[40:41]
	s_cbranch_execz .LBB10_187
; %bb.186:
	v_mov_b32_e32 v11, 0
	ds_read_b32 v11, v11 offset:7800
	s_waitcnt lgkmcnt(1)
	v_add_f32_e32 v9, v9, v10
	s_waitcnt vmcnt(0)
	v_sub_f32_e32 v7, v7, v9
	s_waitcnt lgkmcnt(0)
	v_div_scale_f32 v9, vcc, v11, v11, v7
	v_div_scale_f32 v10, vcc, v7, v11, v7
	v_rcp_f32_e32 v12, v9
	v_fma_f32 v13, -v9, v12, 1.0
	v_fmac_f32_e32 v12, v13, v12
	v_mul_f32_e32 v13, v10, v12
	v_fma_f32 v14, -v9, v13, v10
	v_fmac_f32_e32 v13, v14, v12
	v_fma_f32 v9, -v9, v13, v10
	v_div_fmas_f32 v9, v9, v12, v13
	v_div_fixup_f32 v7, v9, v11, v7
.LBB10_187:
	s_or_b64 exec, exec, s[42:43]
	v_mov_b32_e32 v9, 0
	v_cmp_gt_u32_e32 vcc, 31, v0
	s_mov_b64 s[42:43], exec
	v_writelane_b32 v35, vcc_lo, 40
	v_writelane_b32 v35, vcc_hi, 41
	s_and_b64 vcc, s[42:43], vcc
	s_mov_b64 exec, vcc
	s_cbranch_execz .LBB10_189
; %bb.188:
	ds_read_b32 v9, v1 offset:7936
	s_waitcnt vmcnt(0) lgkmcnt(0)
	v_fma_f32 v9, v7, v9, 0
.LBB10_189:
	s_or_b64 exec, exec, s[42:43]
	s_waitcnt lgkmcnt(0)
	ds_bpermute_b32 v10, v2, v9
	v_cmp_eq_u32_e32 vcc, 31, v0
	s_waitcnt lgkmcnt(0)
	v_add_f32_e32 v9, v9, v10
	ds_bpermute_b32 v10, v3, v9
	s_waitcnt lgkmcnt(0)
	v_add_f32_e32 v9, v9, v10
	ds_bpermute_b32 v10, v4, v9
	s_waitcnt lgkmcnt(0)
	v_add_f32_e32 v9, v9, v10
	ds_bpermute_b32 v10, v5, v9
	s_waitcnt lgkmcnt(0)
	v_add_f32_e32 v9, v9, v10
	ds_bpermute_b32 v10, v6, v9
	s_mov_b64 s[42:43], exec
	v_writelane_b32 v35, vcc_lo, 42
	v_writelane_b32 v35, vcc_hi, 43
	s_and_b64 vcc, s[42:43], vcc
	s_mov_b64 exec, vcc
	s_cbranch_execz .LBB10_191
; %bb.190:
	v_mov_b32_e32 v0, 0
	ds_read_b32 v0, v0 offset:8060
	s_waitcnt lgkmcnt(1)
	v_add_f32_e32 v9, v9, v10
	s_waitcnt vmcnt(0)
	v_sub_f32_e32 v7, v7, v9
	s_waitcnt lgkmcnt(0)
	v_div_scale_f32 v9, vcc, v0, v0, v7
	v_div_scale_f32 v10, vcc, v7, v0, v7
	v_rcp_f32_e32 v11, v9
	v_fma_f32 v12, -v9, v11, 1.0
	v_fmac_f32_e32 v11, v12, v11
	v_mul_f32_e32 v12, v10, v11
	v_fma_f32 v13, -v9, v12, v10
	v_fmac_f32_e32 v12, v13, v11
	v_fma_f32 v9, -v9, v12, v10
	v_div_fmas_f32 v9, v9, v11, v12
	v_div_fixup_f32 v7, v9, v0, v7
.LBB10_191:
	s_or_b64 exec, exec, s[42:43]
	ds_read_b32 v0, v1 offset:8192
	s_waitcnt vmcnt(0) lgkmcnt(0)
	v_mul_f32_e32 v9, v7, v0
	ds_bpermute_b32 v9, v2, v9
	s_waitcnt lgkmcnt(0)
	v_fmac_f32_e32 v9, v7, v0
	ds_bpermute_b32 v0, v3, v9
	s_waitcnt lgkmcnt(0)
	v_add_f32_e32 v0, v9, v0
	ds_bpermute_b32 v9, v4, v0
	s_waitcnt lgkmcnt(0)
	v_add_f32_e32 v0, v0, v9
	ds_bpermute_b32 v9, v5, v0
	s_waitcnt lgkmcnt(0)
	v_add_f32_e32 v0, v0, v9
	ds_bpermute_b32 v9, v6, v0
	s_and_saveexec_b64 s[42:43], s[6:7]
	s_cbranch_execz .LBB10_193
; %bb.192:
	v_mov_b32_e32 v10, 0
	ds_read_b32 v10, v10 offset:8320
	s_waitcnt lgkmcnt(1)
	v_add_f32_e32 v0, v0, v9
	v_sub_f32_e32 v0, v8, v0
	s_waitcnt lgkmcnt(0)
	v_div_scale_f32 v8, vcc, v10, v10, v0
	v_div_scale_f32 v9, vcc, v0, v10, v0
	v_rcp_f32_e32 v11, v8
	v_fma_f32 v12, -v8, v11, 1.0
	v_fmac_f32_e32 v11, v12, v11
	v_mul_f32_e32 v12, v9, v11
	v_fma_f32 v13, -v8, v12, v9
	v_fmac_f32_e32 v12, v13, v11
	v_fma_f32 v8, -v8, v12, v9
	v_div_fmas_f32 v8, v8, v11, v12
	v_div_fixup_f32 v8, v8, v10, v0
.LBB10_193:
	s_or_b64 exec, exec, s[42:43]
	ds_read_b32 v0, v1 offset:8448
	s_waitcnt lgkmcnt(0)
	v_mul_f32_e32 v0, v7, v0
	s_and_saveexec_b64 s[42:43], s[6:7]
	s_cbranch_execz .LBB10_195
; %bb.194:
	ds_read_b32 v9, v1 offset:8576
	s_waitcnt lgkmcnt(0)
	v_fmac_f32_e32 v0, v8, v9
.LBB10_195:
	s_or_b64 exec, exec, s[42:43]
	ds_bpermute_b32 v9, v2, v0
	s_waitcnt lgkmcnt(0)
	v_add_f32_e32 v0, v0, v9
	ds_bpermute_b32 v9, v3, v0
	s_waitcnt lgkmcnt(0)
	v_add_f32_e32 v0, v0, v9
	ds_bpermute_b32 v9, v4, v0
	s_waitcnt lgkmcnt(0)
	v_add_f32_e32 v0, v0, v9
	ds_bpermute_b32 v9, v5, v0
	s_waitcnt lgkmcnt(0)
	v_add_f32_e32 v0, v0, v9
	ds_bpermute_b32 v9, v6, v0
	s_and_saveexec_b64 s[6:7], s[72:73]
	s_cbranch_execz .LBB10_197
; %bb.196:
	v_mov_b32_e32 v10, 0
	ds_read_b32 v10, v10 offset:8580
	s_waitcnt lgkmcnt(1)
	v_add_f32_e32 v0, v0, v9
	v_sub_f32_e32 v0, v8, v0
	s_waitcnt lgkmcnt(0)
	v_div_scale_f32 v8, s[42:43], v10, v10, v0
	v_div_scale_f32 v9, vcc, v0, v10, v0
	v_rcp_f32_e32 v11, v8
	v_fma_f32 v12, -v8, v11, 1.0
	v_fmac_f32_e32 v11, v12, v11
	v_mul_f32_e32 v12, v9, v11
	v_fma_f32 v13, -v8, v12, v9
	v_fmac_f32_e32 v12, v13, v11
	v_fma_f32 v8, -v8, v12, v9
	v_div_fmas_f32 v8, v8, v11, v12
	v_div_fixup_f32 v8, v8, v10, v0
.LBB10_197:
	s_or_b64 exec, exec, s[6:7]
	ds_read_b32 v0, v1 offset:8704
	s_waitcnt lgkmcnt(0)
	v_mul_f32_e32 v0, v7, v0
	s_mov_b64 s[6:7], exec
	v_readlane_b32 s42, v35, 4
	v_readlane_b32 s43, v35, 5
	s_and_b64 s[42:43], s[6:7], s[42:43]
	s_mov_b64 exec, s[42:43]
	s_cbranch_execz .LBB10_199
; %bb.198:
	ds_read_b32 v9, v1 offset:8832
	s_waitcnt lgkmcnt(0)
	v_fmac_f32_e32 v0, v8, v9
.LBB10_199:
	s_or_b64 exec, exec, s[6:7]
	ds_bpermute_b32 v9, v2, v0
	s_waitcnt lgkmcnt(0)
	v_add_f32_e32 v0, v0, v9
	ds_bpermute_b32 v9, v3, v0
	s_waitcnt lgkmcnt(0)
	v_add_f32_e32 v0, v0, v9
	ds_bpermute_b32 v9, v4, v0
	s_waitcnt lgkmcnt(0)
	v_add_f32_e32 v0, v0, v9
	ds_bpermute_b32 v9, v5, v0
	s_waitcnt lgkmcnt(0)
	v_add_f32_e32 v0, v0, v9
	ds_bpermute_b32 v9, v6, v0
	s_and_saveexec_b64 s[6:7], s[74:75]
	s_cbranch_execz .LBB10_201
; %bb.200:
	v_mov_b32_e32 v10, 0
	ds_read_b32 v10, v10 offset:8840
	s_waitcnt lgkmcnt(1)
	v_add_f32_e32 v0, v0, v9
	v_sub_f32_e32 v0, v8, v0
	s_waitcnt lgkmcnt(0)
	v_div_scale_f32 v8, s[42:43], v10, v10, v0
	v_div_scale_f32 v9, vcc, v0, v10, v0
	v_rcp_f32_e32 v11, v8
	v_fma_f32 v12, -v8, v11, 1.0
	v_fmac_f32_e32 v11, v12, v11
	v_mul_f32_e32 v12, v9, v11
	v_fma_f32 v13, -v8, v12, v9
	v_fmac_f32_e32 v12, v13, v11
	v_fma_f32 v8, -v8, v12, v9
	v_div_fmas_f32 v8, v8, v11, v12
	v_div_fixup_f32 v8, v8, v10, v0
.LBB10_201:
	s_or_b64 exec, exec, s[6:7]
	ds_read_b32 v0, v1 offset:8960
	s_waitcnt lgkmcnt(0)
	v_mul_f32_e32 v0, v7, v0
	s_mov_b64 s[6:7], exec
	v_readlane_b32 s42, v35, 6
	v_readlane_b32 s43, v35, 7
	s_and_b64 s[42:43], s[6:7], s[42:43]
	s_mov_b64 exec, s[42:43]
	;; [unrolled: 50-line block ×18, first 2 shown]
	s_cbranch_execz .LBB10_267
; %bb.266:
	ds_read_b32 v9, v1 offset:13184
	s_waitcnt lgkmcnt(0)
	v_fmac_f32_e32 v0, v8, v9
.LBB10_267:
	s_or_b64 exec, exec, s[0:1]
	ds_bpermute_b32 v9, v2, v0
	s_waitcnt lgkmcnt(0)
	v_add_f32_e32 v0, v0, v9
	ds_bpermute_b32 v9, v3, v0
	s_waitcnt lgkmcnt(0)
	v_add_f32_e32 v0, v0, v9
	ds_bpermute_b32 v9, v4, v0
	s_waitcnt lgkmcnt(0)
	v_add_f32_e32 v0, v0, v9
	ds_bpermute_b32 v9, v5, v0
	s_waitcnt lgkmcnt(0)
	v_add_f32_e32 v0, v0, v9
	ds_bpermute_b32 v9, v6, v0
	s_and_saveexec_b64 s[0:1], s[16:17]
	s_cbranch_execz .LBB10_269
; %bb.268:
	v_mov_b32_e32 v10, 0
	ds_read_b32 v10, v10 offset:13260
	s_waitcnt lgkmcnt(1)
	v_add_f32_e32 v0, v0, v9
	v_sub_f32_e32 v0, v8, v0
	s_waitcnt lgkmcnt(0)
	v_div_scale_f32 v8, s[2:3], v10, v10, v0
	v_div_scale_f32 v9, vcc, v0, v10, v0
	v_rcp_f32_e32 v11, v8
	v_fma_f32 v12, -v8, v11, 1.0
	v_fmac_f32_e32 v11, v12, v11
	v_mul_f32_e32 v12, v9, v11
	v_fma_f32 v13, -v8, v12, v9
	v_fmac_f32_e32 v12, v13, v11
	v_fma_f32 v8, -v8, v12, v9
	v_div_fmas_f32 v8, v8, v11, v12
	v_div_fixup_f32 v8, v8, v10, v0
.LBB10_269:
	s_or_b64 exec, exec, s[0:1]
	ds_read_b32 v0, v1 offset:13312
	s_waitcnt lgkmcnt(0)
	v_mul_f32_e32 v0, v7, v0
	s_and_saveexec_b64 s[0:1], s[50:51]
	s_cbranch_execz .LBB10_271
; %bb.270:
	ds_read_b32 v9, v1 offset:13440
	s_waitcnt lgkmcnt(0)
	v_fmac_f32_e32 v0, v8, v9
.LBB10_271:
	s_or_b64 exec, exec, s[0:1]
	ds_bpermute_b32 v9, v2, v0
	s_waitcnt lgkmcnt(0)
	v_add_f32_e32 v0, v0, v9
	ds_bpermute_b32 v9, v3, v0
	s_waitcnt lgkmcnt(0)
	v_add_f32_e32 v0, v0, v9
	ds_bpermute_b32 v9, v4, v0
	s_waitcnt lgkmcnt(0)
	v_add_f32_e32 v0, v0, v9
	ds_bpermute_b32 v9, v5, v0
	s_waitcnt lgkmcnt(0)
	v_add_f32_e32 v0, v0, v9
	ds_bpermute_b32 v9, v6, v0
	s_and_saveexec_b64 s[0:1], s[18:19]
	s_cbranch_execz .LBB10_273
; %bb.272:
	v_mov_b32_e32 v10, 0
	ds_read_b32 v10, v10 offset:13520
	s_waitcnt lgkmcnt(1)
	v_add_f32_e32 v0, v0, v9
	v_sub_f32_e32 v0, v8, v0
	s_waitcnt lgkmcnt(0)
	v_div_scale_f32 v8, s[2:3], v10, v10, v0
	v_div_scale_f32 v9, vcc, v0, v10, v0
	v_rcp_f32_e32 v11, v8
	v_fma_f32 v12, -v8, v11, 1.0
	v_fmac_f32_e32 v11, v12, v11
	v_mul_f32_e32 v12, v9, v11
	v_fma_f32 v13, -v8, v12, v9
	v_fmac_f32_e32 v12, v13, v11
	v_fma_f32 v8, -v8, v12, v9
	v_div_fmas_f32 v8, v8, v11, v12
	v_div_fixup_f32 v8, v8, v10, v0
.LBB10_273:
	s_or_b64 exec, exec, s[0:1]
	ds_read_b32 v0, v1 offset:13568
	s_waitcnt lgkmcnt(0)
	v_mul_f32_e32 v0, v7, v0
	s_and_saveexec_b64 s[0:1], s[52:53]
	;; [unrolled: 46-line block ×11, first 2 shown]
	s_cbranch_execz .LBB10_311
; %bb.310:
	ds_read_b32 v9, v1 offset:16000
	s_waitcnt lgkmcnt(0)
	v_fmac_f32_e32 v0, v8, v9
.LBB10_311:
	s_or_b64 exec, exec, s[0:1]
	ds_bpermute_b32 v9, v2, v0
	s_waitcnt lgkmcnt(0)
	v_add_f32_e32 v0, v0, v9
	ds_bpermute_b32 v9, v3, v0
	s_waitcnt lgkmcnt(0)
	v_add_f32_e32 v0, v0, v9
	;; [unrolled: 3-line block ×4, first 2 shown]
	ds_bpermute_b32 v9, v6, v0
	s_and_saveexec_b64 s[0:1], s[40:41]
	s_cbranch_execz .LBB10_313
; %bb.312:
	v_mov_b32_e32 v10, 0
	ds_read_b32 v10, v10 offset:16120
	s_waitcnt lgkmcnt(1)
	v_add_f32_e32 v0, v0, v9
	v_sub_f32_e32 v0, v8, v0
	s_waitcnt lgkmcnt(0)
	v_div_scale_f32 v8, s[2:3], v10, v10, v0
	v_div_scale_f32 v9, vcc, v0, v10, v0
	v_rcp_f32_e32 v11, v8
	v_fma_f32 v12, -v8, v11, 1.0
	v_fmac_f32_e32 v11, v12, v11
	v_mul_f32_e32 v12, v9, v11
	v_fma_f32 v13, -v8, v12, v9
	v_fmac_f32_e32 v12, v13, v11
	v_fma_f32 v8, -v8, v12, v9
	v_div_fmas_f32 v8, v8, v11, v12
	v_div_fixup_f32 v8, v8, v10, v0
.LBB10_313:
	s_or_b64 exec, exec, s[0:1]
	ds_read_b32 v0, v1 offset:16128
	s_load_dwordx2 s[0:1], s[4:5], 0x10
	s_waitcnt lgkmcnt(0)
	v_mul_f32_e32 v0, v7, v0
	s_mov_b64 s[2:3], exec
	v_readlane_b32 s4, v35, 40
	v_readlane_b32 s5, v35, 41
	s_and_b64 s[4:5], s[2:3], s[4:5]
	s_mov_b64 exec, s[4:5]
	s_cbranch_execz .LBB10_315
; %bb.314:
	ds_read_b32 v9, v1 offset:16256
	s_waitcnt lgkmcnt(0)
	v_fmac_f32_e32 v0, v8, v9
.LBB10_315:
	s_or_b64 exec, exec, s[2:3]
	ds_bpermute_b32 v2, v2, v0
	s_waitcnt lgkmcnt(0)
	v_add_f32_e32 v0, v0, v2
	ds_bpermute_b32 v2, v3, v0
	s_waitcnt lgkmcnt(0)
	v_add_f32_e32 v0, v0, v2
	;; [unrolled: 3-line block ×4, first 2 shown]
	ds_bpermute_b32 v2, v6, v0
	s_mov_b64 s[2:3], exec
	v_readlane_b32 s4, v35, 42
	v_readlane_b32 s5, v35, 43
	s_and_b64 s[4:5], s[2:3], s[4:5]
	s_mov_b64 exec, s[4:5]
	s_cbranch_execz .LBB10_317
; %bb.316:
	v_mov_b32_e32 v3, 0
	ds_read_b32 v3, v3 offset:16380
	s_waitcnt lgkmcnt(1)
	v_add_f32_e32 v0, v0, v2
	v_sub_f32_e32 v0, v8, v0
	s_waitcnt lgkmcnt(0)
	v_div_scale_f32 v2, s[4:5], v3, v3, v0
	v_div_scale_f32 v4, vcc, v0, v3, v0
	v_rcp_f32_e32 v5, v2
	v_fma_f32 v6, -v2, v5, 1.0
	v_fmac_f32_e32 v5, v6, v5
	v_mul_f32_e32 v6, v4, v5
	v_fma_f32 v8, -v2, v6, v4
	v_fmac_f32_e32 v6, v8, v5
	v_fma_f32 v2, -v2, v6, v4
	v_div_fmas_f32 v2, v2, v5, v6
	v_div_fixup_f32 v8, v2, v3, v0
.LBB10_317:
	s_or_b64 exec, exec, s[2:3]
	s_mul_i32 s2, s45, s48
	s_mul_hi_u32 s3, s44, s48
	s_add_i32 s3, s3, s2
	s_mul_i32 s2, s44, s48
	s_mul_i32 s4, s47, s33
	s_mul_hi_u32 s5, s46, s33
	s_add_i32 s5, s5, s4
	s_lshl_b64 s[2:3], s[2:3], 2
	s_mul_i32 s4, s46, s33
	s_add_u32 s2, s0, s2
	s_addc_u32 s3, s1, s3
	s_lshl_b64 s[0:1], s[4:5], 2
	s_add_u32 s0, s2, s0
	s_addc_u32 s1, s3, s1
	s_mov_b64 s[2:3], exec
	v_readlane_b32 s4, v35, 0
	v_readlane_b32 s5, v35, 1
	s_and_b64 s[4:5], s[2:3], s[4:5]
	s_mov_b64 exec, s[4:5]
	s_cbranch_execz .LBB10_319
; %bb.318:
	v_readlane_b32 s4, v35, 2
	v_readlane_b32 s5, v35, 3
	v_cndmask_b32_e64 v0, v8, v7, s[4:5]
	global_store_dword v1, v0, s[0:1]
.LBB10_319:
	s_or_b64 exec, exec, s[2:3]
	v_readlane_b32 s2, v35, 2
	v_readlane_b32 s3, v35, 3
	s_and_b64 exec, exec, s[2:3]
	s_cbranch_execz .LBB10_321
; %bb.320:
	global_store_dword v1, v8, s[0:1] offset:128
.LBB10_321:
	s_endpgm
.LBB10_322:
	global_load_dword v8, v1, s[0:1] offset:128
	s_or_b64 exec, exec, s[2:3]
	v_cmp_eq_u32_e64 s[6:7], 0, v0
	s_and_saveexec_b64 s[0:1], s[6:7]
	s_cbranch_execz .LBB10_67
.LBB10_323:
	v_mov_b32_e32 v2, 0
	ds_read_b32 v2, v2
	s_waitcnt vmcnt(0) lgkmcnt(0)
	v_div_scale_f32 v3, s[2:3], v2, v2, v7
	v_div_scale_f32 v4, vcc, v7, v2, v7
	v_rcp_f32_e32 v5, v3
	v_fma_f32 v6, -v3, v5, 1.0
	v_fmac_f32_e32 v5, v6, v5
	v_mul_f32_e32 v6, v4, v5
	v_fma_f32 v9, -v3, v6, v4
	v_fmac_f32_e32 v6, v9, v5
	v_fma_f32 v3, -v3, v6, v4
	v_div_fmas_f32 v3, v3, v5, v6
	v_div_fixup_f32 v7, v3, v2, v7
	s_or_b64 exec, exec, s[0:1]
	v_mov_b32_e32 v4, 0
	s_and_saveexec_b64 s[0:1], s[6:7]
	s_cbranch_execnz .LBB10_68
	s_branch .LBB10_69
	.section	.rodata,"a",@progbits
	.p2align	6, 0x0
	.amdhsa_kernel _ZL18solve_tri_f32_fastILi64ELi1EEvPKfS1_Pf15HIP_vector_typeIjLj3EEmmmmmmii
		.amdhsa_group_segment_fixed_size 16384
		.amdhsa_private_segment_fixed_size 0
		.amdhsa_kernarg_size 96
		.amdhsa_user_sgpr_count 6
		.amdhsa_user_sgpr_private_segment_buffer 1
		.amdhsa_user_sgpr_dispatch_ptr 0
		.amdhsa_user_sgpr_queue_ptr 0
		.amdhsa_user_sgpr_kernarg_segment_ptr 1
		.amdhsa_user_sgpr_dispatch_id 0
		.amdhsa_user_sgpr_flat_scratch_init 0
		.amdhsa_user_sgpr_private_segment_size 0
		.amdhsa_uses_dynamic_stack 0
		.amdhsa_system_sgpr_private_segment_wavefront_offset 0
		.amdhsa_system_sgpr_workgroup_id_x 1
		.amdhsa_system_sgpr_workgroup_id_y 0
		.amdhsa_system_sgpr_workgroup_id_z 0
		.amdhsa_system_sgpr_workgroup_info 0
		.amdhsa_system_vgpr_workitem_id 1
		.amdhsa_next_free_vgpr 36
		.amdhsa_next_free_sgpr 96
		.amdhsa_reserve_vcc 1
		.amdhsa_reserve_flat_scratch 0
		.amdhsa_float_round_mode_32 0
		.amdhsa_float_round_mode_16_64 0
		.amdhsa_float_denorm_mode_32 3
		.amdhsa_float_denorm_mode_16_64 3
		.amdhsa_dx10_clamp 1
		.amdhsa_ieee_mode 1
		.amdhsa_fp16_overflow 0
		.amdhsa_exception_fp_ieee_invalid_op 0
		.amdhsa_exception_fp_denorm_src 0
		.amdhsa_exception_fp_ieee_div_zero 0
		.amdhsa_exception_fp_ieee_overflow 0
		.amdhsa_exception_fp_ieee_underflow 0
		.amdhsa_exception_fp_ieee_inexact 0
		.amdhsa_exception_int_div_zero 0
	.end_amdhsa_kernel
	.section	.text._ZL18solve_tri_f32_fastILi64ELi1EEvPKfS1_Pf15HIP_vector_typeIjLj3EEmmmmmmii,"axG",@progbits,_ZL18solve_tri_f32_fastILi64ELi1EEvPKfS1_Pf15HIP_vector_typeIjLj3EEmmmmmmii,comdat
.Lfunc_end10:
	.size	_ZL18solve_tri_f32_fastILi64ELi1EEvPKfS1_Pf15HIP_vector_typeIjLj3EEmmmmmmii, .Lfunc_end10-_ZL18solve_tri_f32_fastILi64ELi1EEvPKfS1_Pf15HIP_vector_typeIjLj3EEmmmmmmii
                                        ; -- End function
	.set _ZL18solve_tri_f32_fastILi64ELi1EEvPKfS1_Pf15HIP_vector_typeIjLj3EEmmmmmmii.num_vgpr, 36
	.set _ZL18solve_tri_f32_fastILi64ELi1EEvPKfS1_Pf15HIP_vector_typeIjLj3EEmmmmmmii.num_agpr, 0
	.set _ZL18solve_tri_f32_fastILi64ELi1EEvPKfS1_Pf15HIP_vector_typeIjLj3EEmmmmmmii.numbered_sgpr, 96
	.set _ZL18solve_tri_f32_fastILi64ELi1EEvPKfS1_Pf15HIP_vector_typeIjLj3EEmmmmmmii.num_named_barrier, 0
	.set _ZL18solve_tri_f32_fastILi64ELi1EEvPKfS1_Pf15HIP_vector_typeIjLj3EEmmmmmmii.private_seg_size, 0
	.set _ZL18solve_tri_f32_fastILi64ELi1EEvPKfS1_Pf15HIP_vector_typeIjLj3EEmmmmmmii.uses_vcc, 1
	.set _ZL18solve_tri_f32_fastILi64ELi1EEvPKfS1_Pf15HIP_vector_typeIjLj3EEmmmmmmii.uses_flat_scratch, 0
	.set _ZL18solve_tri_f32_fastILi64ELi1EEvPKfS1_Pf15HIP_vector_typeIjLj3EEmmmmmmii.has_dyn_sized_stack, 0
	.set _ZL18solve_tri_f32_fastILi64ELi1EEvPKfS1_Pf15HIP_vector_typeIjLj3EEmmmmmmii.has_recursion, 0
	.set _ZL18solve_tri_f32_fastILi64ELi1EEvPKfS1_Pf15HIP_vector_typeIjLj3EEmmmmmmii.has_indirect_call, 0
	.section	.AMDGPU.csdata,"",@progbits
; Kernel info:
; codeLenInByte = 19684
; TotalNumSgprs: 100
; NumVgprs: 36
; ScratchSize: 0
; MemoryBound: 0
; FloatMode: 240
; IeeeMode: 1
; LDSByteSize: 16384 bytes/workgroup (compile time only)
; SGPRBlocks: 12
; VGPRBlocks: 8
; NumSGPRsForWavesPerEU: 100
; NumVGPRsForWavesPerEU: 36
; Occupancy: 7
; WaveLimiterHint : 1
; COMPUTE_PGM_RSRC2:SCRATCH_EN: 0
; COMPUTE_PGM_RSRC2:USER_SGPR: 6
; COMPUTE_PGM_RSRC2:TRAP_HANDLER: 0
; COMPUTE_PGM_RSRC2:TGID_X_EN: 1
; COMPUTE_PGM_RSRC2:TGID_Y_EN: 0
; COMPUTE_PGM_RSRC2:TGID_Z_EN: 0
; COMPUTE_PGM_RSRC2:TIDIG_COMP_CNT: 1
	.section	.text._ZL18solve_tri_f32_fastILi0ELi0EEvPKfS1_Pf15HIP_vector_typeIjLj3EEmmmmmmii,"axG",@progbits,_ZL18solve_tri_f32_fastILi0ELi0EEvPKfS1_Pf15HIP_vector_typeIjLj3EEmmmmmmii,comdat
	.globl	_ZL18solve_tri_f32_fastILi0ELi0EEvPKfS1_Pf15HIP_vector_typeIjLj3EEmmmmmmii ; -- Begin function _ZL18solve_tri_f32_fastILi0ELi0EEvPKfS1_Pf15HIP_vector_typeIjLj3EEmmmmmmii
	.p2align	8
	.type	_ZL18solve_tri_f32_fastILi0ELi0EEvPKfS1_Pf15HIP_vector_typeIjLj3EEmmmmmmii,@function
_ZL18solve_tri_f32_fastILi0ELi0EEvPKfS1_Pf15HIP_vector_typeIjLj3EEmmmmmmii: ; @_ZL18solve_tri_f32_fastILi0ELi0EEvPKfS1_Pf15HIP_vector_typeIjLj3EEmmmmmmii
; %bb.0:
	s_load_dwordx2 s[20:21], s[4:5], 0x58
	s_waitcnt lgkmcnt(0)
	v_cmp_gt_i32_e32 vcc, s21, v1
	s_and_saveexec_b64 s[0:1], vcc
	s_cbranch_execz .LBB11_28
; %bb.1:
	s_load_dwordx4 s[24:27], s[4:5], 0x18
	s_load_dwordx2 s[0:1], s[4:5], 0x8
	s_load_dwordx8 s[8:15], s[4:5], 0x28
	s_load_dwordx4 s[16:19], s[4:5], 0x48
	s_waitcnt lgkmcnt(0)
	s_mul_hi_u32 s2, s24, s6
	s_add_i32 s2, s6, s2
	s_lshr_b32 s22, s2, s25
	s_mul_i32 s2, s22, s26
	s_sub_i32 s23, s6, s2
	s_cmp_eq_u32 s20, 0
	s_mov_b32 s6, 0
	s_cbranch_scc1 .LBB11_6
; %bb.2:
	s_load_dwordx2 s[2:3], s[4:5], 0x0
	s_load_dword s24, s[4:5], 0x6c
	s_mul_i32 s7, s9, s23
	s_mul_hi_u32 s9, s8, s23
	s_add_i32 s9, s9, s7
	s_mul_i32 s8, s8, s23
	s_lshl_b64 s[8:9], s[8:9], 2
	s_waitcnt lgkmcnt(0)
	s_add_u32 s7, s2, s8
	s_addc_u32 s8, s3, s9
	s_mul_i32 s2, s11, s22
	s_mul_hi_u32 s3, s10, s22
	s_add_i32 s3, s3, s2
	s_mul_i32 s2, s10, s22
	s_lshl_b64 s[2:3], s[2:3], 2
	s_add_u32 s7, s7, s2
	s_addc_u32 s8, s8, s3
	s_and_b32 s2, s24, 0xffff
	v_mad_u32_u24 v4, v1, s2, v0
	s_mul_i32 s9, s20, s20
	s_lshl_b32 s10, s21, 5
	v_lshlrev_b32_e32 v5, 2, v4
	s_lshl_b32 s11, s21, 7
	v_mov_b32_e32 v3, 0
	s_branch .LBB11_4
.LBB11_3:                               ;   in Loop: Header=BB11_4 Depth=1
	s_or_b64 exec, exec, s[2:3]
	s_add_i32 s6, s6, s10
	s_cmp_ge_i32 s6, s9
	v_add_u32_e32 v5, s11, v5
	s_cbranch_scc1 .LBB11_6
.LBB11_4:                               ; =>This Inner Loop Header: Depth=1
	v_add_u32_e32 v2, s6, v4
	v_cmp_gt_i32_e32 vcc, s9, v2
	s_and_saveexec_b64 s[2:3], vcc
	s_cbranch_execz .LBB11_3
; %bb.5:                                ;   in Loop: Header=BB11_4 Depth=1
	v_lshlrev_b64 v[6:7], 2, v[2:3]
	v_mov_b32_e32 v2, s8
	v_add_co_u32_e32 v6, vcc, s7, v6
	v_addc_co_u32_e32 v7, vcc, v2, v7, vcc
	global_load_dword v2, v[6:7], off
	s_waitcnt vmcnt(0)
	ds_write_b32 v5, v2
	s_branch .LBB11_3
.LBB11_6:
	s_mul_i32 s2, s13, s23
	s_mul_hi_u32 s3, s12, s23
	s_add_i32 s3, s3, s2
	s_mul_i32 s2, s12, s23
	s_lshl_b64 s[2:3], s[2:3], 2
	s_add_u32 s2, s0, s2
	s_addc_u32 s3, s1, s3
	s_mul_i32 s0, s15, s22
	s_mul_hi_u32 s1, s14, s22
	s_add_i32 s1, s1, s0
	s_mul_i32 s0, s14, s22
	s_lshl_b64 s[0:1], s[0:1], 2
	s_add_u32 s8, s2, s0
	s_addc_u32 s9, s3, s1
	v_cmp_gt_i32_e64 s[0:1], s20, v0
	v_mov_b32_e32 v2, 0
	v_mov_b32_e32 v4, 0
	s_waitcnt lgkmcnt(0)
	s_barrier
	s_and_saveexec_b64 s[2:3], s[0:1]
	s_cbranch_execz .LBB11_8
; %bb.7:
	v_mad_u64_u32 v[3:4], s[6:7], s21, v0, v[1:2]
	v_mov_b32_e32 v4, 0
	v_mov_b32_e32 v5, s9
	v_lshlrev_b64 v[3:4], 2, v[3:4]
	v_add_co_u32_e32 v3, vcc, s8, v3
	v_addc_co_u32_e32 v4, vcc, v5, v4, vcc
	global_load_dword v4, v[3:4], off
.LBB11_8:
	s_or_b64 exec, exec, s[2:3]
	v_add_u32_e32 v3, 32, v0
	v_cmp_gt_i32_e64 s[2:3], s20, v3
	s_and_saveexec_b64 s[6:7], s[2:3]
	s_cbranch_execz .LBB11_10
; %bb.9:
	v_mad_u64_u32 v[5:6], s[10:11], s21, v3, v[1:2]
	v_mov_b32_e32 v6, 0
	v_mov_b32_e32 v2, s9
	v_lshlrev_b64 v[5:6], 2, v[5:6]
	v_add_co_u32_e32 v5, vcc, s8, v5
	v_addc_co_u32_e32 v6, vcc, v2, v6, vcc
	global_load_dword v2, v[5:6], off
.LBB11_10:
	s_or_b64 exec, exec, s[6:7]
	s_load_dwordx2 s[4:5], s[4:5], 0x10
	s_cmp_lt_i32 s20, 1
	v_mbcnt_lo_u32_b32 v5, -1, 0
	s_cbranch_scc1 .LBB11_17
; %bb.11:
	v_mbcnt_hi_u32_b32 v11, -1, v5
	v_and_b32_e32 v7, 0x60, v11
	v_add_u32_e32 v12, 32, v7
	v_xor_b32_e32 v7, 16, v11
	v_cmp_lt_i32_e32 vcc, v7, v12
	v_xor_b32_e32 v8, 8, v11
	v_cndmask_b32_e32 v7, v11, v7, vcc
	v_cmp_lt_i32_e32 vcc, v8, v12
	v_xor_b32_e32 v9, 4, v11
	v_cndmask_b32_e32 v8, v11, v8, vcc
	v_cmp_lt_i32_e32 vcc, v9, v12
	v_xor_b32_e32 v10, 2, v11
	v_mul_lo_u32 v14, v0, s20
	v_cndmask_b32_e32 v9, v11, v9, vcc
	v_cmp_lt_i32_e32 vcc, v10, v12
	v_xor_b32_e32 v13, 1, v11
	v_cndmask_b32_e32 v10, v11, v10, vcc
	v_cmp_lt_i32_e32 vcc, v13, v12
	v_cndmask_b32_e32 v11, v11, v13, vcc
	s_min_i32 s8, s20, 32
	v_lshlrev_b32_e32 v6, 2, v0
	s_mov_b32 s9, 0
	v_lshlrev_b32_e32 v7, 2, v7
	v_lshlrev_b32_e32 v8, 2, v8
	v_lshlrev_b32_e32 v9, 2, v9
	v_lshlrev_b32_e32 v10, 2, v10
	v_lshlrev_b32_e32 v11, 2, v11
	v_add_lshl_u32 v12, v14, v0, 2
	s_lshl_b32 s10, s20, 2
	s_branch .LBB11_13
.LBB11_12:                              ;   in Loop: Header=BB11_13 Depth=1
	s_or_b64 exec, exec, s[6:7]
	s_add_i32 s9, s9, 1
	s_cmp_eq_u32 s8, s9
	v_add_u32_e32 v6, s10, v6
	s_cbranch_scc1 .LBB11_17
.LBB11_13:                              ; =>This Inner Loop Header: Depth=1
	v_cmp_gt_u32_e32 vcc, s9, v0
	v_mov_b32_e32 v13, 0
	s_and_saveexec_b64 s[6:7], vcc
	s_cbranch_execz .LBB11_15
; %bb.14:                               ;   in Loop: Header=BB11_13 Depth=1
	ds_read_b32 v13, v6
	s_waitcnt vmcnt(0) lgkmcnt(0)
	v_fma_f32 v13, v4, v13, 0
.LBB11_15:                              ;   in Loop: Header=BB11_13 Depth=1
	s_or_b64 exec, exec, s[6:7]
	s_waitcnt lgkmcnt(0)
	ds_bpermute_b32 v14, v7, v13
	v_cmp_eq_u32_e32 vcc, s9, v0
	s_waitcnt lgkmcnt(0)
	v_add_f32_e32 v13, v13, v14
	ds_bpermute_b32 v14, v8, v13
	s_waitcnt lgkmcnt(0)
	v_add_f32_e32 v13, v13, v14
	ds_bpermute_b32 v14, v9, v13
	;; [unrolled: 3-line block ×4, first 2 shown]
	s_and_saveexec_b64 s[6:7], vcc
	s_cbranch_execz .LBB11_12
; %bb.16:                               ;   in Loop: Header=BB11_13 Depth=1
	ds_read_b32 v15, v12
	s_waitcnt lgkmcnt(1)
	v_add_f32_e32 v13, v13, v14
	s_waitcnt vmcnt(0)
	v_sub_f32_e32 v4, v4, v13
	s_waitcnt lgkmcnt(0)
	v_div_scale_f32 v13, s[12:13], v15, v15, v4
	v_div_scale_f32 v14, vcc, v4, v15, v4
	v_rcp_f32_e32 v16, v13
	v_fma_f32 v17, -v13, v16, 1.0
	v_fmac_f32_e32 v16, v17, v16
	v_mul_f32_e32 v17, v14, v16
	v_fma_f32 v18, -v13, v17, v14
	v_fmac_f32_e32 v17, v18, v16
	v_fma_f32 v13, -v13, v17, v14
	v_div_fmas_f32 v13, v13, v16, v17
	v_div_fixup_f32 v4, v13, v15, v4
	s_branch .LBB11_12
.LBB11_17:
	s_cmp_lt_i32 s20, 33
	s_cbranch_scc1 .LBB11_24
; %bb.18:
	v_mbcnt_hi_u32_b32 v9, -1, v5
	v_and_b32_e32 v5, 0x60, v9
	v_add_u32_e32 v10, 32, v5
	v_xor_b32_e32 v5, 16, v9
	v_cmp_lt_i32_e32 vcc, v5, v10
	v_xor_b32_e32 v6, 8, v9
	v_cndmask_b32_e32 v5, v9, v5, vcc
	v_cmp_lt_i32_e32 vcc, v6, v10
	v_xor_b32_e32 v7, 4, v9
	v_cndmask_b32_e32 v6, v9, v6, vcc
	;; [unrolled: 3-line block ×4, first 2 shown]
	v_cmp_lt_i32_e32 vcc, v11, v10
	v_cndmask_b32_e32 v9, v9, v11, vcc
	s_lshl_b32 s6, s20, 7
	s_lshl_b32 s8, s20, 2
	s_mov_b32 s11, 32
	v_lshlrev_b32_e32 v5, 2, v5
	v_lshlrev_b32_e32 v6, 2, v6
	;; [unrolled: 1-line block ×5, first 2 shown]
	v_lshl_add_u32 v10, v0, 2, s6
	s_add_i32 s9, s6, 0x80
	s_add_i32 s10, s8, 4
	s_branch .LBB11_20
.LBB11_19:                              ;   in Loop: Header=BB11_20 Depth=1
	s_or_b64 exec, exec, s[6:7]
	s_add_i32 s9, s9, s10
	s_add_i32 s11, s11, 33
	s_cmp_eq_u32 s11, s20
	v_add_u32_e32 v10, s8, v10
	s_cbranch_scc1 .LBB11_24
.LBB11_20:                              ; =>This Inner Loop Header: Depth=1
	ds_read_b32 v11, v10
	v_cmp_gt_u32_e32 vcc, s11, v3
	s_waitcnt vmcnt(0) lgkmcnt(0)
	v_mul_f32_e32 v11, v4, v11
	s_and_saveexec_b64 s[6:7], vcc
	s_cbranch_execz .LBB11_22
; %bb.21:                               ;   in Loop: Header=BB11_20 Depth=1
	ds_read_b32 v12, v10 offset:128
	s_waitcnt lgkmcnt(0)
	v_fmac_f32_e32 v11, v2, v12
.LBB11_22:                              ;   in Loop: Header=BB11_20 Depth=1
	s_or_b64 exec, exec, s[6:7]
	ds_bpermute_b32 v12, v5, v11
	s_sub_i32 s11, s11, 32
	v_cmp_eq_u32_e32 vcc, s11, v0
	s_waitcnt lgkmcnt(0)
	v_add_f32_e32 v11, v11, v12
	ds_bpermute_b32 v12, v6, v11
	s_waitcnt lgkmcnt(0)
	v_add_f32_e32 v11, v11, v12
	ds_bpermute_b32 v12, v7, v11
	;; [unrolled: 3-line block ×4, first 2 shown]
	s_and_saveexec_b64 s[6:7], vcc
	s_cbranch_execz .LBB11_19
; %bb.23:                               ;   in Loop: Header=BB11_20 Depth=1
	v_mov_b32_e32 v13, s9
	ds_read_b32 v13, v13
	s_waitcnt lgkmcnt(1)
	v_add_f32_e32 v11, v11, v12
	v_sub_f32_e32 v2, v2, v11
	s_waitcnt lgkmcnt(0)
	v_div_scale_f32 v11, s[12:13], v13, v13, v2
	v_div_scale_f32 v12, vcc, v2, v13, v2
	v_rcp_f32_e32 v14, v11
	v_fma_f32 v15, -v11, v14, 1.0
	v_fmac_f32_e32 v14, v15, v14
	v_mul_f32_e32 v15, v12, v14
	v_fma_f32 v16, -v11, v15, v12
	v_fmac_f32_e32 v15, v16, v14
	v_fma_f32 v11, -v11, v15, v12
	v_div_fmas_f32 v11, v11, v14, v15
	v_div_fixup_f32 v2, v11, v13, v2
	s_branch .LBB11_19
.LBB11_24:
	s_mul_i32 s6, s17, s23
	s_mul_hi_u32 s7, s16, s23
	s_add_i32 s7, s7, s6
	s_mul_i32 s6, s16, s23
	s_lshl_b64 s[6:7], s[6:7], 2
	s_waitcnt lgkmcnt(0)
	s_add_u32 s6, s4, s6
	s_addc_u32 s7, s5, s7
	s_mul_i32 s4, s19, s22
	s_mul_hi_u32 s5, s18, s22
	s_add_i32 s5, s5, s4
	s_mul_i32 s4, s18, s22
	s_lshl_b64 s[4:5], s[4:5], 2
	s_add_u32 s6, s6, s4
	s_addc_u32 s7, s7, s5
	s_and_saveexec_b64 s[4:5], s[0:1]
	s_cbranch_execz .LBB11_26
; %bb.25:
	s_waitcnt vmcnt(0)
	v_mad_u64_u32 v[5:6], s[0:1], v0, s21, v[1:2]
	v_cmp_gt_u32_e32 vcc, 32, v0
	v_mov_b32_e32 v6, 0
	v_cndmask_b32_e32 v0, v2, v4, vcc
	v_lshlrev_b64 v[4:5], 2, v[5:6]
	v_mov_b32_e32 v6, s7
	v_add_co_u32_e32 v4, vcc, s6, v4
	v_addc_co_u32_e32 v5, vcc, v6, v5, vcc
	global_store_dword v[4:5], v0, off
.LBB11_26:
	s_or_b64 exec, exec, s[4:5]
	s_and_b64 exec, exec, s[2:3]
	s_cbranch_execz .LBB11_28
; %bb.27:
	s_waitcnt vmcnt(0)
	v_mad_u64_u32 v[0:1], s[0:1], v3, s21, v[1:2]
	v_mov_b32_e32 v1, 0
	v_mov_b32_e32 v3, s7
	v_lshlrev_b64 v[0:1], 2, v[0:1]
	v_add_co_u32_e32 v0, vcc, s6, v0
	v_addc_co_u32_e32 v1, vcc, v3, v1, vcc
	global_store_dword v[0:1], v2, off
.LBB11_28:
	s_endpgm
	.section	.rodata,"a",@progbits
	.p2align	6, 0x0
	.amdhsa_kernel _ZL18solve_tri_f32_fastILi0ELi0EEvPKfS1_Pf15HIP_vector_typeIjLj3EEmmmmmmii
		.amdhsa_group_segment_fixed_size 16384
		.amdhsa_private_segment_fixed_size 0
		.amdhsa_kernarg_size 352
		.amdhsa_user_sgpr_count 6
		.amdhsa_user_sgpr_private_segment_buffer 1
		.amdhsa_user_sgpr_dispatch_ptr 0
		.amdhsa_user_sgpr_queue_ptr 0
		.amdhsa_user_sgpr_kernarg_segment_ptr 1
		.amdhsa_user_sgpr_dispatch_id 0
		.amdhsa_user_sgpr_flat_scratch_init 0
		.amdhsa_user_sgpr_private_segment_size 0
		.amdhsa_uses_dynamic_stack 0
		.amdhsa_system_sgpr_private_segment_wavefront_offset 0
		.amdhsa_system_sgpr_workgroup_id_x 1
		.amdhsa_system_sgpr_workgroup_id_y 0
		.amdhsa_system_sgpr_workgroup_id_z 0
		.amdhsa_system_sgpr_workgroup_info 0
		.amdhsa_system_vgpr_workitem_id 1
		.amdhsa_next_free_vgpr 29
		.amdhsa_next_free_sgpr 61
		.amdhsa_reserve_vcc 1
		.amdhsa_reserve_flat_scratch 0
		.amdhsa_float_round_mode_32 0
		.amdhsa_float_round_mode_16_64 0
		.amdhsa_float_denorm_mode_32 3
		.amdhsa_float_denorm_mode_16_64 3
		.amdhsa_dx10_clamp 1
		.amdhsa_ieee_mode 1
		.amdhsa_fp16_overflow 0
		.amdhsa_exception_fp_ieee_invalid_op 0
		.amdhsa_exception_fp_denorm_src 0
		.amdhsa_exception_fp_ieee_div_zero 0
		.amdhsa_exception_fp_ieee_overflow 0
		.amdhsa_exception_fp_ieee_underflow 0
		.amdhsa_exception_fp_ieee_inexact 0
		.amdhsa_exception_int_div_zero 0
	.end_amdhsa_kernel
	.section	.text._ZL18solve_tri_f32_fastILi0ELi0EEvPKfS1_Pf15HIP_vector_typeIjLj3EEmmmmmmii,"axG",@progbits,_ZL18solve_tri_f32_fastILi0ELi0EEvPKfS1_Pf15HIP_vector_typeIjLj3EEmmmmmmii,comdat
.Lfunc_end11:
	.size	_ZL18solve_tri_f32_fastILi0ELi0EEvPKfS1_Pf15HIP_vector_typeIjLj3EEmmmmmmii, .Lfunc_end11-_ZL18solve_tri_f32_fastILi0ELi0EEvPKfS1_Pf15HIP_vector_typeIjLj3EEmmmmmmii
                                        ; -- End function
	.set _ZL18solve_tri_f32_fastILi0ELi0EEvPKfS1_Pf15HIP_vector_typeIjLj3EEmmmmmmii.num_vgpr, 19
	.set _ZL18solve_tri_f32_fastILi0ELi0EEvPKfS1_Pf15HIP_vector_typeIjLj3EEmmmmmmii.num_agpr, 0
	.set _ZL18solve_tri_f32_fastILi0ELi0EEvPKfS1_Pf15HIP_vector_typeIjLj3EEmmmmmmii.numbered_sgpr, 28
	.set _ZL18solve_tri_f32_fastILi0ELi0EEvPKfS1_Pf15HIP_vector_typeIjLj3EEmmmmmmii.num_named_barrier, 0
	.set _ZL18solve_tri_f32_fastILi0ELi0EEvPKfS1_Pf15HIP_vector_typeIjLj3EEmmmmmmii.private_seg_size, 0
	.set _ZL18solve_tri_f32_fastILi0ELi0EEvPKfS1_Pf15HIP_vector_typeIjLj3EEmmmmmmii.uses_vcc, 1
	.set _ZL18solve_tri_f32_fastILi0ELi0EEvPKfS1_Pf15HIP_vector_typeIjLj3EEmmmmmmii.uses_flat_scratch, 0
	.set _ZL18solve_tri_f32_fastILi0ELi0EEvPKfS1_Pf15HIP_vector_typeIjLj3EEmmmmmmii.has_dyn_sized_stack, 0
	.set _ZL18solve_tri_f32_fastILi0ELi0EEvPKfS1_Pf15HIP_vector_typeIjLj3EEmmmmmmii.has_recursion, 0
	.set _ZL18solve_tri_f32_fastILi0ELi0EEvPKfS1_Pf15HIP_vector_typeIjLj3EEmmmmmmii.has_indirect_call, 0
	.section	.AMDGPU.csdata,"",@progbits
; Kernel info:
; codeLenInByte = 1484
; TotalNumSgprs: 32
; NumVgprs: 19
; ScratchSize: 0
; MemoryBound: 0
; FloatMode: 240
; IeeeMode: 1
; LDSByteSize: 16384 bytes/workgroup (compile time only)
; SGPRBlocks: 8
; VGPRBlocks: 7
; NumSGPRsForWavesPerEU: 65
; NumVGPRsForWavesPerEU: 29
; Occupancy: 8
; WaveLimiterHint : 0
; COMPUTE_PGM_RSRC2:SCRATCH_EN: 0
; COMPUTE_PGM_RSRC2:USER_SGPR: 6
; COMPUTE_PGM_RSRC2:TRAP_HANDLER: 0
; COMPUTE_PGM_RSRC2:TGID_X_EN: 1
; COMPUTE_PGM_RSRC2:TGID_Y_EN: 0
; COMPUTE_PGM_RSRC2:TGID_Z_EN: 0
; COMPUTE_PGM_RSRC2:TIDIG_COMP_CNT: 1
	.section	.AMDGPU.gpr_maximums,"",@progbits
	.set amdgpu.max_num_vgpr, 0
	.set amdgpu.max_num_agpr, 0
	.set amdgpu.max_num_sgpr, 0
	.section	.AMDGPU.csdata,"",@progbits
	.type	__hip_cuid_4faf19fec76d3838,@object ; @__hip_cuid_4faf19fec76d3838
	.section	.bss,"aw",@nobits
	.globl	__hip_cuid_4faf19fec76d3838
__hip_cuid_4faf19fec76d3838:
	.byte	0                               ; 0x0
	.size	__hip_cuid_4faf19fec76d3838, 1

	.ident	"AMD clang version 22.0.0git (https://github.com/RadeonOpenCompute/llvm-project roc-7.2.4 26084 f58b06dce1f9c15707c5f808fd002e18c2accf7e)"
	.section	".note.GNU-stack","",@progbits
	.addrsig
	.addrsig_sym __hip_cuid_4faf19fec76d3838
	.amdgpu_metadata
---
amdhsa.kernels:
  - .args:
      - .address_space:  global
        .offset:         0
        .size:           8
        .value_kind:     global_buffer
      - .address_space:  global
        .offset:         8
        .size:           8
        .value_kind:     global_buffer
      - .address_space:  global
        .offset:         16
        .size:           8
        .value_kind:     global_buffer
      - .address_space:  global
        .offset:         24
        .size:           8
        .value_kind:     global_buffer
      - .offset:         32
        .size:           8
        .value_kind:     by_value
      - .offset:         40
        .size:           8
        .value_kind:     by_value
      - .offset:         48
        .size:           8
        .value_kind:     by_value
      - .offset:         56
        .size:           8
        .value_kind:     by_value
      - .offset:         64
        .size:           8
        .value_kind:     by_value
      - .offset:         72
        .size:           8
        .value_kind:     by_value
      - .offset:         80
        .size:           4
        .value_kind:     hidden_block_count_x
      - .offset:         84
        .size:           4
        .value_kind:     hidden_block_count_y
      - .offset:         88
        .size:           4
        .value_kind:     hidden_block_count_z
      - .offset:         92
        .size:           2
        .value_kind:     hidden_group_size_x
      - .offset:         94
        .size:           2
        .value_kind:     hidden_group_size_y
      - .offset:         96
        .size:           2
        .value_kind:     hidden_group_size_z
      - .offset:         98
        .size:           2
        .value_kind:     hidden_remainder_x
      - .offset:         100
        .size:           2
        .value_kind:     hidden_remainder_y
      - .offset:         102
        .size:           2
        .value_kind:     hidden_remainder_z
      - .offset:         120
        .size:           8
        .value_kind:     hidden_global_offset_x
      - .offset:         128
        .size:           8
        .value_kind:     hidden_global_offset_y
      - .offset:         136
        .size:           8
        .value_kind:     hidden_global_offset_z
      - .offset:         144
        .size:           2
        .value_kind:     hidden_grid_dims
    .group_segment_fixed_size: 0
    .kernarg_segment_align: 8
    .kernarg_segment_size: 336
    .language:       OpenCL C
    .language_version:
      - 2
      - 0
    .max_flat_workgroup_size: 1024
    .name:           _ZL18get_batch_pointersPKfPfPS0_PS1_llmmmm
    .private_segment_fixed_size: 0
    .sgpr_count:     35
    .sgpr_spill_count: 0
    .symbol:         _ZL18get_batch_pointersPKfPfPS0_PS1_llmmmm.kd
    .uniform_work_group_size: 1
    .uses_dynamic_stack: false
    .vgpr_count:     14
    .vgpr_spill_count: 0
    .wavefront_size: 64
  - .args:
      - .actual_access:  read_only
        .address_space:  global
        .offset:         0
        .size:           8
        .value_kind:     global_buffer
      - .actual_access:  read_only
        .address_space:  global
        .offset:         8
        .size:           8
        .value_kind:     global_buffer
      - .actual_access:  write_only
        .address_space:  global
        .offset:         16
        .size:           8
        .value_kind:     global_buffer
      - .offset:         24
        .size:           12
        .value_kind:     by_value
      - .offset:         40
        .size:           8
        .value_kind:     by_value
      - .offset:         48
        .size:           8
        .value_kind:     by_value
      - .offset:         56
        .size:           8
        .value_kind:     by_value
      - .offset:         64
        .size:           8
        .value_kind:     by_value
      - .offset:         72
        .size:           8
        .value_kind:     by_value
      - .offset:         80
        .size:           8
        .value_kind:     by_value
      - .offset:         88
        .size:           4
        .value_kind:     by_value
      - .offset:         92
        .size:           4
        .value_kind:     by_value
      - .offset:         96
        .size:           4
        .value_kind:     hidden_block_count_x
      - .offset:         100
        .size:           4
        .value_kind:     hidden_block_count_y
      - .offset:         104
        .size:           4
        .value_kind:     hidden_block_count_z
      - .offset:         108
        .size:           2
        .value_kind:     hidden_group_size_x
      - .offset:         110
        .size:           2
        .value_kind:     hidden_group_size_y
      - .offset:         112
        .size:           2
        .value_kind:     hidden_group_size_z
      - .offset:         114
        .size:           2
        .value_kind:     hidden_remainder_x
      - .offset:         116
        .size:           2
        .value_kind:     hidden_remainder_y
      - .offset:         118
        .size:           2
        .value_kind:     hidden_remainder_z
      - .offset:         136
        .size:           8
        .value_kind:     hidden_global_offset_x
      - .offset:         144
        .size:           8
        .value_kind:     hidden_global_offset_y
      - .offset:         152
        .size:           8
        .value_kind:     hidden_global_offset_z
      - .offset:         160
        .size:           2
        .value_kind:     hidden_grid_dims
    .group_segment_fixed_size: 16384
    .kernarg_segment_align: 8
    .kernarg_segment_size: 352
    .language:       OpenCL C
    .language_version:
      - 2
      - 0
    .max_flat_workgroup_size: 1024
    .name:           _ZL18solve_tri_f32_fastILi64ELi32EEvPKfS1_Pf15HIP_vector_typeIjLj3EEmmmmmmii
    .private_segment_fixed_size: 0
    .sgpr_count:     100
    .sgpr_spill_count: 44
    .symbol:         _ZL18solve_tri_f32_fastILi64ELi32EEvPKfS1_Pf15HIP_vector_typeIjLj3EEmmmmmmii.kd
    .uniform_work_group_size: 1
    .uses_dynamic_stack: false
    .vgpr_count:     18
    .vgpr_spill_count: 0
    .wavefront_size: 64
  - .args:
      - .actual_access:  read_only
        .address_space:  global
        .offset:         0
        .size:           8
        .value_kind:     global_buffer
      - .actual_access:  read_only
        .address_space:  global
        .offset:         8
        .size:           8
        .value_kind:     global_buffer
      - .actual_access:  write_only
        .address_space:  global
        .offset:         16
        .size:           8
        .value_kind:     global_buffer
      - .offset:         24
        .size:           12
        .value_kind:     by_value
      - .offset:         40
        .size:           8
        .value_kind:     by_value
      - .offset:         48
        .size:           8
        .value_kind:     by_value
      - .offset:         56
        .size:           8
        .value_kind:     by_value
      - .offset:         64
        .size:           8
        .value_kind:     by_value
      - .offset:         72
        .size:           8
        .value_kind:     by_value
      - .offset:         80
        .size:           8
        .value_kind:     by_value
      - .offset:         88
        .size:           4
        .value_kind:     by_value
      - .offset:         92
        .size:           4
        .value_kind:     by_value
      - .offset:         96
        .size:           4
        .value_kind:     hidden_block_count_x
      - .offset:         100
        .size:           4
        .value_kind:     hidden_block_count_y
      - .offset:         104
        .size:           4
        .value_kind:     hidden_block_count_z
      - .offset:         108
        .size:           2
        .value_kind:     hidden_group_size_x
      - .offset:         110
        .size:           2
        .value_kind:     hidden_group_size_y
      - .offset:         112
        .size:           2
        .value_kind:     hidden_group_size_z
      - .offset:         114
        .size:           2
        .value_kind:     hidden_remainder_x
      - .offset:         116
        .size:           2
        .value_kind:     hidden_remainder_y
      - .offset:         118
        .size:           2
        .value_kind:     hidden_remainder_z
      - .offset:         136
        .size:           8
        .value_kind:     hidden_global_offset_x
      - .offset:         144
        .size:           8
        .value_kind:     hidden_global_offset_y
      - .offset:         152
        .size:           8
        .value_kind:     hidden_global_offset_z
      - .offset:         160
        .size:           2
        .value_kind:     hidden_grid_dims
    .group_segment_fixed_size: 16384
    .kernarg_segment_align: 8
    .kernarg_segment_size: 352
    .language:       OpenCL C
    .language_version:
      - 2
      - 0
    .max_flat_workgroup_size: 1024
    .name:           _ZL18solve_tri_f32_fastILi64ELi16EEvPKfS1_Pf15HIP_vector_typeIjLj3EEmmmmmmii
    .private_segment_fixed_size: 0
    .sgpr_count:     100
    .sgpr_spill_count: 44
    .symbol:         _ZL18solve_tri_f32_fastILi64ELi16EEvPKfS1_Pf15HIP_vector_typeIjLj3EEmmmmmmii.kd
    .uniform_work_group_size: 1
    .uses_dynamic_stack: false
    .vgpr_count:     18
    .vgpr_spill_count: 0
    .wavefront_size: 64
  - .args:
      - .actual_access:  read_only
        .address_space:  global
        .offset:         0
        .size:           8
        .value_kind:     global_buffer
      - .actual_access:  read_only
        .address_space:  global
        .offset:         8
        .size:           8
        .value_kind:     global_buffer
      - .actual_access:  write_only
        .address_space:  global
        .offset:         16
        .size:           8
        .value_kind:     global_buffer
      - .offset:         24
        .size:           12
        .value_kind:     by_value
      - .offset:         40
        .size:           8
        .value_kind:     by_value
      - .offset:         48
        .size:           8
        .value_kind:     by_value
      - .offset:         56
        .size:           8
        .value_kind:     by_value
      - .offset:         64
        .size:           8
        .value_kind:     by_value
      - .offset:         72
        .size:           8
        .value_kind:     by_value
      - .offset:         80
        .size:           8
        .value_kind:     by_value
      - .offset:         88
        .size:           4
        .value_kind:     by_value
      - .offset:         92
        .size:           4
        .value_kind:     by_value
      - .offset:         96
        .size:           4
        .value_kind:     hidden_block_count_x
      - .offset:         100
        .size:           4
        .value_kind:     hidden_block_count_y
      - .offset:         104
        .size:           4
        .value_kind:     hidden_block_count_z
      - .offset:         108
        .size:           2
        .value_kind:     hidden_group_size_x
      - .offset:         110
        .size:           2
        .value_kind:     hidden_group_size_y
      - .offset:         112
        .size:           2
        .value_kind:     hidden_group_size_z
      - .offset:         114
        .size:           2
        .value_kind:     hidden_remainder_x
      - .offset:         116
        .size:           2
        .value_kind:     hidden_remainder_y
      - .offset:         118
        .size:           2
        .value_kind:     hidden_remainder_z
      - .offset:         136
        .size:           8
        .value_kind:     hidden_global_offset_x
      - .offset:         144
        .size:           8
        .value_kind:     hidden_global_offset_y
      - .offset:         152
        .size:           8
        .value_kind:     hidden_global_offset_z
      - .offset:         160
        .size:           2
        .value_kind:     hidden_grid_dims
    .group_segment_fixed_size: 16384
    .kernarg_segment_align: 8
    .kernarg_segment_size: 352
    .language:       OpenCL C
    .language_version:
      - 2
      - 0
    .max_flat_workgroup_size: 1024
    .name:           _ZL18solve_tri_f32_fastILi64ELi14EEvPKfS1_Pf15HIP_vector_typeIjLj3EEmmmmmmii
    .private_segment_fixed_size: 0
    .sgpr_count:     100
    .sgpr_spill_count: 44
    .symbol:         _ZL18solve_tri_f32_fastILi64ELi14EEvPKfS1_Pf15HIP_vector_typeIjLj3EEmmmmmmii.kd
    .uniform_work_group_size: 1
    .uses_dynamic_stack: false
    .vgpr_count:     19
    .vgpr_spill_count: 0
    .wavefront_size: 64
  - .args:
      - .actual_access:  read_only
        .address_space:  global
        .offset:         0
        .size:           8
        .value_kind:     global_buffer
      - .actual_access:  read_only
        .address_space:  global
        .offset:         8
        .size:           8
        .value_kind:     global_buffer
      - .actual_access:  write_only
        .address_space:  global
        .offset:         16
        .size:           8
        .value_kind:     global_buffer
      - .offset:         24
        .size:           12
        .value_kind:     by_value
      - .offset:         40
        .size:           8
        .value_kind:     by_value
      - .offset:         48
        .size:           8
        .value_kind:     by_value
      - .offset:         56
        .size:           8
        .value_kind:     by_value
      - .offset:         64
        .size:           8
        .value_kind:     by_value
      - .offset:         72
        .size:           8
        .value_kind:     by_value
      - .offset:         80
        .size:           8
        .value_kind:     by_value
      - .offset:         88
        .size:           4
        .value_kind:     by_value
      - .offset:         92
        .size:           4
        .value_kind:     by_value
      - .offset:         96
        .size:           4
        .value_kind:     hidden_block_count_x
      - .offset:         100
        .size:           4
        .value_kind:     hidden_block_count_y
      - .offset:         104
        .size:           4
        .value_kind:     hidden_block_count_z
      - .offset:         108
        .size:           2
        .value_kind:     hidden_group_size_x
      - .offset:         110
        .size:           2
        .value_kind:     hidden_group_size_y
      - .offset:         112
        .size:           2
        .value_kind:     hidden_group_size_z
      - .offset:         114
        .size:           2
        .value_kind:     hidden_remainder_x
      - .offset:         116
        .size:           2
        .value_kind:     hidden_remainder_y
      - .offset:         118
        .size:           2
        .value_kind:     hidden_remainder_z
      - .offset:         136
        .size:           8
        .value_kind:     hidden_global_offset_x
      - .offset:         144
        .size:           8
        .value_kind:     hidden_global_offset_y
      - .offset:         152
        .size:           8
        .value_kind:     hidden_global_offset_z
      - .offset:         160
        .size:           2
        .value_kind:     hidden_grid_dims
    .group_segment_fixed_size: 16384
    .kernarg_segment_align: 8
    .kernarg_segment_size: 352
    .language:       OpenCL C
    .language_version:
      - 2
      - 0
    .max_flat_workgroup_size: 1024
    .name:           _ZL18solve_tri_f32_fastILi64ELi12EEvPKfS1_Pf15HIP_vector_typeIjLj3EEmmmmmmii
    .private_segment_fixed_size: 0
    .sgpr_count:     100
    .sgpr_spill_count: 44
    .symbol:         _ZL18solve_tri_f32_fastILi64ELi12EEvPKfS1_Pf15HIP_vector_typeIjLj3EEmmmmmmii.kd
    .uniform_work_group_size: 1
    .uses_dynamic_stack: false
    .vgpr_count:     19
    .vgpr_spill_count: 0
    .wavefront_size: 64
  - .args:
      - .actual_access:  read_only
        .address_space:  global
        .offset:         0
        .size:           8
        .value_kind:     global_buffer
      - .actual_access:  read_only
        .address_space:  global
        .offset:         8
        .size:           8
        .value_kind:     global_buffer
      - .actual_access:  write_only
        .address_space:  global
        .offset:         16
        .size:           8
        .value_kind:     global_buffer
      - .offset:         24
        .size:           12
        .value_kind:     by_value
      - .offset:         40
        .size:           8
        .value_kind:     by_value
      - .offset:         48
        .size:           8
        .value_kind:     by_value
      - .offset:         56
        .size:           8
        .value_kind:     by_value
      - .offset:         64
        .size:           8
        .value_kind:     by_value
      - .offset:         72
        .size:           8
        .value_kind:     by_value
      - .offset:         80
        .size:           8
        .value_kind:     by_value
      - .offset:         88
        .size:           4
        .value_kind:     by_value
      - .offset:         92
        .size:           4
        .value_kind:     by_value
      - .offset:         96
        .size:           4
        .value_kind:     hidden_block_count_x
      - .offset:         100
        .size:           4
        .value_kind:     hidden_block_count_y
      - .offset:         104
        .size:           4
        .value_kind:     hidden_block_count_z
      - .offset:         108
        .size:           2
        .value_kind:     hidden_group_size_x
      - .offset:         110
        .size:           2
        .value_kind:     hidden_group_size_y
      - .offset:         112
        .size:           2
        .value_kind:     hidden_group_size_z
      - .offset:         114
        .size:           2
        .value_kind:     hidden_remainder_x
      - .offset:         116
        .size:           2
        .value_kind:     hidden_remainder_y
      - .offset:         118
        .size:           2
        .value_kind:     hidden_remainder_z
      - .offset:         136
        .size:           8
        .value_kind:     hidden_global_offset_x
      - .offset:         144
        .size:           8
        .value_kind:     hidden_global_offset_y
      - .offset:         152
        .size:           8
        .value_kind:     hidden_global_offset_z
      - .offset:         160
        .size:           2
        .value_kind:     hidden_grid_dims
    .group_segment_fixed_size: 16384
    .kernarg_segment_align: 8
    .kernarg_segment_size: 352
    .language:       OpenCL C
    .language_version:
      - 2
      - 0
    .max_flat_workgroup_size: 1024
    .name:           _ZL18solve_tri_f32_fastILi64ELi10EEvPKfS1_Pf15HIP_vector_typeIjLj3EEmmmmmmii
    .private_segment_fixed_size: 0
    .sgpr_count:     100
    .sgpr_spill_count: 44
    .symbol:         _ZL18solve_tri_f32_fastILi64ELi10EEvPKfS1_Pf15HIP_vector_typeIjLj3EEmmmmmmii.kd
    .uniform_work_group_size: 1
    .uses_dynamic_stack: false
    .vgpr_count:     19
    .vgpr_spill_count: 0
    .wavefront_size: 64
  - .args:
      - .actual_access:  read_only
        .address_space:  global
        .offset:         0
        .size:           8
        .value_kind:     global_buffer
      - .actual_access:  read_only
        .address_space:  global
        .offset:         8
        .size:           8
        .value_kind:     global_buffer
      - .actual_access:  write_only
        .address_space:  global
        .offset:         16
        .size:           8
        .value_kind:     global_buffer
      - .offset:         24
        .size:           12
        .value_kind:     by_value
      - .offset:         40
        .size:           8
        .value_kind:     by_value
      - .offset:         48
        .size:           8
        .value_kind:     by_value
      - .offset:         56
        .size:           8
        .value_kind:     by_value
      - .offset:         64
        .size:           8
        .value_kind:     by_value
      - .offset:         72
        .size:           8
        .value_kind:     by_value
      - .offset:         80
        .size:           8
        .value_kind:     by_value
      - .offset:         88
        .size:           4
        .value_kind:     by_value
      - .offset:         92
        .size:           4
        .value_kind:     by_value
      - .offset:         96
        .size:           4
        .value_kind:     hidden_block_count_x
      - .offset:         100
        .size:           4
        .value_kind:     hidden_block_count_y
      - .offset:         104
        .size:           4
        .value_kind:     hidden_block_count_z
      - .offset:         108
        .size:           2
        .value_kind:     hidden_group_size_x
      - .offset:         110
        .size:           2
        .value_kind:     hidden_group_size_y
      - .offset:         112
        .size:           2
        .value_kind:     hidden_group_size_z
      - .offset:         114
        .size:           2
        .value_kind:     hidden_remainder_x
      - .offset:         116
        .size:           2
        .value_kind:     hidden_remainder_y
      - .offset:         118
        .size:           2
        .value_kind:     hidden_remainder_z
      - .offset:         136
        .size:           8
        .value_kind:     hidden_global_offset_x
      - .offset:         144
        .size:           8
        .value_kind:     hidden_global_offset_y
      - .offset:         152
        .size:           8
        .value_kind:     hidden_global_offset_z
      - .offset:         160
        .size:           2
        .value_kind:     hidden_grid_dims
    .group_segment_fixed_size: 16384
    .kernarg_segment_align: 8
    .kernarg_segment_size: 352
    .language:       OpenCL C
    .language_version:
      - 2
      - 0
    .max_flat_workgroup_size: 1024
    .name:           _ZL18solve_tri_f32_fastILi64ELi8EEvPKfS1_Pf15HIP_vector_typeIjLj3EEmmmmmmii
    .private_segment_fixed_size: 0
    .sgpr_count:     100
    .sgpr_spill_count: 44
    .symbol:         _ZL18solve_tri_f32_fastILi64ELi8EEvPKfS1_Pf15HIP_vector_typeIjLj3EEmmmmmmii.kd
    .uniform_work_group_size: 1
    .uses_dynamic_stack: false
    .vgpr_count:     18
    .vgpr_spill_count: 0
    .wavefront_size: 64
  - .args:
      - .actual_access:  read_only
        .address_space:  global
        .offset:         0
        .size:           8
        .value_kind:     global_buffer
      - .actual_access:  read_only
        .address_space:  global
        .offset:         8
        .size:           8
        .value_kind:     global_buffer
      - .actual_access:  write_only
        .address_space:  global
        .offset:         16
        .size:           8
        .value_kind:     global_buffer
      - .offset:         24
        .size:           12
        .value_kind:     by_value
      - .offset:         40
        .size:           8
        .value_kind:     by_value
      - .offset:         48
        .size:           8
        .value_kind:     by_value
      - .offset:         56
        .size:           8
        .value_kind:     by_value
      - .offset:         64
        .size:           8
        .value_kind:     by_value
      - .offset:         72
        .size:           8
        .value_kind:     by_value
      - .offset:         80
        .size:           8
        .value_kind:     by_value
      - .offset:         88
        .size:           4
        .value_kind:     by_value
      - .offset:         92
        .size:           4
        .value_kind:     by_value
      - .offset:         96
        .size:           4
        .value_kind:     hidden_block_count_x
      - .offset:         100
        .size:           4
        .value_kind:     hidden_block_count_y
      - .offset:         104
        .size:           4
        .value_kind:     hidden_block_count_z
      - .offset:         108
        .size:           2
        .value_kind:     hidden_group_size_x
      - .offset:         110
        .size:           2
        .value_kind:     hidden_group_size_y
      - .offset:         112
        .size:           2
        .value_kind:     hidden_group_size_z
      - .offset:         114
        .size:           2
        .value_kind:     hidden_remainder_x
      - .offset:         116
        .size:           2
        .value_kind:     hidden_remainder_y
      - .offset:         118
        .size:           2
        .value_kind:     hidden_remainder_z
      - .offset:         136
        .size:           8
        .value_kind:     hidden_global_offset_x
      - .offset:         144
        .size:           8
        .value_kind:     hidden_global_offset_y
      - .offset:         152
        .size:           8
        .value_kind:     hidden_global_offset_z
      - .offset:         160
        .size:           2
        .value_kind:     hidden_grid_dims
    .group_segment_fixed_size: 16384
    .kernarg_segment_align: 8
    .kernarg_segment_size: 352
    .language:       OpenCL C
    .language_version:
      - 2
      - 0
    .max_flat_workgroup_size: 1024
    .name:           _ZL18solve_tri_f32_fastILi64ELi6EEvPKfS1_Pf15HIP_vector_typeIjLj3EEmmmmmmii
    .private_segment_fixed_size: 0
    .sgpr_count:     100
    .sgpr_spill_count: 44
    .symbol:         _ZL18solve_tri_f32_fastILi64ELi6EEvPKfS1_Pf15HIP_vector_typeIjLj3EEmmmmmmii.kd
    .uniform_work_group_size: 1
    .uses_dynamic_stack: false
    .vgpr_count:     19
    .vgpr_spill_count: 0
    .wavefront_size: 64
  - .args:
      - .actual_access:  read_only
        .address_space:  global
        .offset:         0
        .size:           8
        .value_kind:     global_buffer
      - .actual_access:  read_only
        .address_space:  global
        .offset:         8
        .size:           8
        .value_kind:     global_buffer
      - .actual_access:  write_only
        .address_space:  global
        .offset:         16
        .size:           8
        .value_kind:     global_buffer
      - .offset:         24
        .size:           12
        .value_kind:     by_value
      - .offset:         40
        .size:           8
        .value_kind:     by_value
      - .offset:         48
        .size:           8
        .value_kind:     by_value
      - .offset:         56
        .size:           8
        .value_kind:     by_value
      - .offset:         64
        .size:           8
        .value_kind:     by_value
      - .offset:         72
        .size:           8
        .value_kind:     by_value
      - .offset:         80
        .size:           8
        .value_kind:     by_value
      - .offset:         88
        .size:           4
        .value_kind:     by_value
      - .offset:         92
        .size:           4
        .value_kind:     by_value
      - .offset:         96
        .size:           4
        .value_kind:     hidden_block_count_x
      - .offset:         100
        .size:           4
        .value_kind:     hidden_block_count_y
      - .offset:         104
        .size:           4
        .value_kind:     hidden_block_count_z
      - .offset:         108
        .size:           2
        .value_kind:     hidden_group_size_x
      - .offset:         110
        .size:           2
        .value_kind:     hidden_group_size_y
      - .offset:         112
        .size:           2
        .value_kind:     hidden_group_size_z
      - .offset:         114
        .size:           2
        .value_kind:     hidden_remainder_x
      - .offset:         116
        .size:           2
        .value_kind:     hidden_remainder_y
      - .offset:         118
        .size:           2
        .value_kind:     hidden_remainder_z
      - .offset:         136
        .size:           8
        .value_kind:     hidden_global_offset_x
      - .offset:         144
        .size:           8
        .value_kind:     hidden_global_offset_y
      - .offset:         152
        .size:           8
        .value_kind:     hidden_global_offset_z
      - .offset:         160
        .size:           2
        .value_kind:     hidden_grid_dims
    .group_segment_fixed_size: 16384
    .kernarg_segment_align: 8
    .kernarg_segment_size: 352
    .language:       OpenCL C
    .language_version:
      - 2
      - 0
    .max_flat_workgroup_size: 1024
    .name:           _ZL18solve_tri_f32_fastILi64ELi4EEvPKfS1_Pf15HIP_vector_typeIjLj3EEmmmmmmii
    .private_segment_fixed_size: 0
    .sgpr_count:     100
    .sgpr_spill_count: 44
    .symbol:         _ZL18solve_tri_f32_fastILi64ELi4EEvPKfS1_Pf15HIP_vector_typeIjLj3EEmmmmmmii.kd
    .uniform_work_group_size: 1
    .uses_dynamic_stack: false
    .vgpr_count:     18
    .vgpr_spill_count: 0
    .wavefront_size: 64
  - .args:
      - .actual_access:  read_only
        .address_space:  global
        .offset:         0
        .size:           8
        .value_kind:     global_buffer
      - .actual_access:  read_only
        .address_space:  global
        .offset:         8
        .size:           8
        .value_kind:     global_buffer
      - .actual_access:  write_only
        .address_space:  global
        .offset:         16
        .size:           8
        .value_kind:     global_buffer
      - .offset:         24
        .size:           12
        .value_kind:     by_value
      - .offset:         40
        .size:           8
        .value_kind:     by_value
      - .offset:         48
        .size:           8
        .value_kind:     by_value
      - .offset:         56
        .size:           8
        .value_kind:     by_value
      - .offset:         64
        .size:           8
        .value_kind:     by_value
      - .offset:         72
        .size:           8
        .value_kind:     by_value
      - .offset:         80
        .size:           8
        .value_kind:     by_value
      - .offset:         88
        .size:           4
        .value_kind:     by_value
      - .offset:         92
        .size:           4
        .value_kind:     by_value
      - .offset:         96
        .size:           4
        .value_kind:     hidden_block_count_x
      - .offset:         100
        .size:           4
        .value_kind:     hidden_block_count_y
      - .offset:         104
        .size:           4
        .value_kind:     hidden_block_count_z
      - .offset:         108
        .size:           2
        .value_kind:     hidden_group_size_x
      - .offset:         110
        .size:           2
        .value_kind:     hidden_group_size_y
      - .offset:         112
        .size:           2
        .value_kind:     hidden_group_size_z
      - .offset:         114
        .size:           2
        .value_kind:     hidden_remainder_x
      - .offset:         116
        .size:           2
        .value_kind:     hidden_remainder_y
      - .offset:         118
        .size:           2
        .value_kind:     hidden_remainder_z
      - .offset:         136
        .size:           8
        .value_kind:     hidden_global_offset_x
      - .offset:         144
        .size:           8
        .value_kind:     hidden_global_offset_y
      - .offset:         152
        .size:           8
        .value_kind:     hidden_global_offset_z
      - .offset:         160
        .size:           2
        .value_kind:     hidden_grid_dims
    .group_segment_fixed_size: 16384
    .kernarg_segment_align: 8
    .kernarg_segment_size: 352
    .language:       OpenCL C
    .language_version:
      - 2
      - 0
    .max_flat_workgroup_size: 1024
    .name:           _ZL18solve_tri_f32_fastILi64ELi2EEvPKfS1_Pf15HIP_vector_typeIjLj3EEmmmmmmii
    .private_segment_fixed_size: 0
    .sgpr_count:     100
    .sgpr_spill_count: 44
    .symbol:         _ZL18solve_tri_f32_fastILi64ELi2EEvPKfS1_Pf15HIP_vector_typeIjLj3EEmmmmmmii.kd
    .uniform_work_group_size: 1
    .uses_dynamic_stack: false
    .vgpr_count:     18
    .vgpr_spill_count: 0
    .wavefront_size: 64
  - .args:
      - .actual_access:  read_only
        .address_space:  global
        .offset:         0
        .size:           8
        .value_kind:     global_buffer
      - .actual_access:  read_only
        .address_space:  global
        .offset:         8
        .size:           8
        .value_kind:     global_buffer
      - .actual_access:  write_only
        .address_space:  global
        .offset:         16
        .size:           8
        .value_kind:     global_buffer
      - .offset:         24
        .size:           12
        .value_kind:     by_value
      - .offset:         40
        .size:           8
        .value_kind:     by_value
      - .offset:         48
        .size:           8
        .value_kind:     by_value
      - .offset:         56
        .size:           8
        .value_kind:     by_value
      - .offset:         64
        .size:           8
        .value_kind:     by_value
      - .offset:         72
        .size:           8
        .value_kind:     by_value
      - .offset:         80
        .size:           8
        .value_kind:     by_value
      - .offset:         88
        .size:           4
        .value_kind:     by_value
      - .offset:         92
        .size:           4
        .value_kind:     by_value
    .group_segment_fixed_size: 16384
    .kernarg_segment_align: 8
    .kernarg_segment_size: 96
    .language:       OpenCL C
    .language_version:
      - 2
      - 0
    .max_flat_workgroup_size: 1024
    .name:           _ZL18solve_tri_f32_fastILi64ELi1EEvPKfS1_Pf15HIP_vector_typeIjLj3EEmmmmmmii
    .private_segment_fixed_size: 0
    .sgpr_count:     100
    .sgpr_spill_count: 44
    .symbol:         _ZL18solve_tri_f32_fastILi64ELi1EEvPKfS1_Pf15HIP_vector_typeIjLj3EEmmmmmmii.kd
    .uniform_work_group_size: 1
    .uses_dynamic_stack: false
    .vgpr_count:     36
    .vgpr_spill_count: 0
    .wavefront_size: 64
  - .args:
      - .actual_access:  read_only
        .address_space:  global
        .offset:         0
        .size:           8
        .value_kind:     global_buffer
      - .actual_access:  read_only
        .address_space:  global
        .offset:         8
        .size:           8
        .value_kind:     global_buffer
      - .actual_access:  write_only
        .address_space:  global
        .offset:         16
        .size:           8
        .value_kind:     global_buffer
      - .offset:         24
        .size:           12
        .value_kind:     by_value
      - .offset:         40
        .size:           8
        .value_kind:     by_value
      - .offset:         48
        .size:           8
        .value_kind:     by_value
      - .offset:         56
        .size:           8
        .value_kind:     by_value
      - .offset:         64
        .size:           8
        .value_kind:     by_value
      - .offset:         72
        .size:           8
        .value_kind:     by_value
      - .offset:         80
        .size:           8
        .value_kind:     by_value
      - .offset:         88
        .size:           4
        .value_kind:     by_value
      - .offset:         92
        .size:           4
        .value_kind:     by_value
      - .offset:         96
        .size:           4
        .value_kind:     hidden_block_count_x
      - .offset:         100
        .size:           4
        .value_kind:     hidden_block_count_y
      - .offset:         104
        .size:           4
        .value_kind:     hidden_block_count_z
      - .offset:         108
        .size:           2
        .value_kind:     hidden_group_size_x
      - .offset:         110
        .size:           2
        .value_kind:     hidden_group_size_y
      - .offset:         112
        .size:           2
        .value_kind:     hidden_group_size_z
      - .offset:         114
        .size:           2
        .value_kind:     hidden_remainder_x
      - .offset:         116
        .size:           2
        .value_kind:     hidden_remainder_y
      - .offset:         118
        .size:           2
        .value_kind:     hidden_remainder_z
      - .offset:         136
        .size:           8
        .value_kind:     hidden_global_offset_x
      - .offset:         144
        .size:           8
        .value_kind:     hidden_global_offset_y
      - .offset:         152
        .size:           8
        .value_kind:     hidden_global_offset_z
      - .offset:         160
        .size:           2
        .value_kind:     hidden_grid_dims
    .group_segment_fixed_size: 16384
    .kernarg_segment_align: 8
    .kernarg_segment_size: 352
    .language:       OpenCL C
    .language_version:
      - 2
      - 0
    .max_flat_workgroup_size: 1024
    .name:           _ZL18solve_tri_f32_fastILi0ELi0EEvPKfS1_Pf15HIP_vector_typeIjLj3EEmmmmmmii
    .private_segment_fixed_size: 0
    .sgpr_count:     32
    .sgpr_spill_count: 0
    .symbol:         _ZL18solve_tri_f32_fastILi0ELi0EEvPKfS1_Pf15HIP_vector_typeIjLj3EEmmmmmmii.kd
    .uniform_work_group_size: 1
    .uses_dynamic_stack: false
    .vgpr_count:     19
    .vgpr_spill_count: 0
    .wavefront_size: 64
amdhsa.target:   amdgcn-amd-amdhsa--gfx906
amdhsa.version:
  - 1
  - 2
...

	.end_amdgpu_metadata
